;; amdgpu-corpus repo=ROCm/aiter kind=harvested arch=n/a opt=n/a

/root/src/amdgpu-assembly/repos/ROCm__aiter/hsa/gfx950/f4gemm/f4gemm_bf16_per1x32Fp4_BpreShuffle_64x384.co:	file format elf64-amdgpu

Disassembly of section .text:

0000000000002c00 <_ZN5aiter41f4gemm_bf16_per1x32Fp4_BpreShuffle_64x384E>:
	s_and_b32 s1, s1, 0xffff                                   // 000000002C00: 8601FF01 0000FFFF
	s_load_dwordx2 s[4:5], s[0:1], 0x0                         // 000000002C08: C0060100 00000000
	s_load_dwordx2 s[8:9], s[0:1], 0x10                        // 000000002C10: C0060200 00000010
	s_load_dwordx2 s[12:13], s[0:1], 0x20                      // 000000002C18: C0060300 00000020
	s_load_dwordx2 s[16:17], s[0:1], 0x30                      // 000000002C20: C0060400 00000030
	s_load_dword s41, s[0:1], 0x40                             // 000000002C28: C0020A40 00000040
	s_load_dword s42, s[0:1], 0x50                             // 000000002C30: C0020A80 00000050
	s_load_dword s36, s[0:1], 0x80                             // 000000002C38: C0020900 00000080
	s_load_dword s37, s[0:1], 0xa0                             // 000000002C40: C0020940 000000A0
	s_load_dword s38, s[0:1], 0xc0                             // 000000002C48: C0020980 000000C0
	s_load_dword s43, s[0:1], 0xe0                             // 000000002C50: C0020AC0 000000E0
	s_load_dword s44, s[0:1], 0xf0                             // 000000002C58: C0020B00 000000F0
	s_load_dword s45, s[0:1], 0x100                            // 000000002C60: C0020B40 00000100
	s_load_dwordx2 s[20:21], s[0:1], 0x110                     // 000000002C68: C0060500 00000110
	s_load_dwordx2 s[24:25], s[0:1], 0x120                     // 000000002C70: C0060600 00000120
	s_load_dword s39, s[0:1], 0x130                            // 000000002C78: C00209C0 00000130
	s_load_dword s40, s[0:1], 0x150                            // 000000002C80: C0020A00 00000150
	v_lshrrev_b32_e32 v1, 10, v0                               // 000000002C88: 2002008A
	v_lshrrev_b32_e32 v2, 10, v1                               // 000000002C8C: 2004028A
	v_and_b32_e32 v2, 0x3ff, v2                                // 000000002C90: 260404FF 000003FF
	v_and_b32_e32 v1, 0x3ff, v1                                // 000000002C98: 260202FF 000003FF
	v_and_b32_e32 v0, 0x3ff, v0                                // 000000002CA0: 260000FF 000003FF
	v_lshrrev_b32_e32 v3, 6, v0                                // 000000002CA8: 20060086
	v_and_b32_e32 v0, 63, v0                                   // 000000002CAC: 260000BF
	s_mov_b32 s47, s2                                          // 000000002CB0: BEAF0002
	s_mov_b32 s48, s3                                          // 000000002CB4: BEB00003
	v_readfirstlane_b32 s46, v3                                // 000000002CB8: 7E5C0503
	s_waitcnt lgkmcnt(0)                                       // 000000002CBC: BF8CC07F
	s_add_u32 s51, s44, 0x17f                                  // 000000002CC0: 8033FF2C 0000017F
	s_mov_b32 s63, 0x180                                       // 000000002CC8: BEBF00FF 00000180
	v_cvt_f32_u32_e32 v4, s63                                  // 000000002CD0: 7E080C3F
	s_sub_i32 s50, 0, s63                                      // 000000002CD4: 81B23F80
	v_rcp_iflag_f32_e32 v4, v4                                 // 000000002CD8: 7E084704
	s_nop 0                                                    // 000000002CDC: BF800000
	v_mul_f32_e32 v4, 0x4f7ffffe, v4                           // 000000002CE0: 0A0808FF 4F7FFFFE
	v_cvt_u32_f32_e32 v4, v4                                   // 000000002CE8: 7E080F04
	v_mul_lo_u32 v5, s50, v4                                   // 000000002CEC: D2850005 00020832
	v_mul_hi_u32 v5, v4, v5                                    // 000000002CF4: D2860005 00020B04
	v_add_u32_e32 v4, v4, v5                                   // 000000002CFC: 68080B04
	v_mul_hi_u32 v4, s51, v4                                   // 000000002D00: D2860004 00020833
	v_mul_lo_u32 v5, v4, s63                                   // 000000002D08: D2850005 00007F04
	v_sub_u32_e32 v7, s51, v5                                  // 000000002D10: 6A0E0A33
	v_add_u32_e32 v6, 1, v4                                    // 000000002D14: 680C0881
	v_cmp_le_u32_e32 vcc, s63, v7                              // 000000002D18: 7D960E3F
	v_subrev_u32_e32 v5, s63, v7                               // 000000002D1C: 6C0A0E3F
	s_nop 0                                                    // 000000002D20: BF800000
	v_cndmask_b32_e32 v4, v4, v6, vcc                          // 000000002D24: 00080D04
	v_cndmask_b32_e32 v7, v7, v5, vcc                          // 000000002D28: 000E0B07
	v_add_u32_e32 v5, 1, v4                                    // 000000002D2C: 680A0881
	v_cmp_le_u32_e32 vcc, s63, v7                              // 000000002D30: 7D960E3F
	s_nop 1                                                    // 000000002D34: BF800001
	v_cndmask_b32_e32 v7, v4, v5, vcc                          // 000000002D38: 000E0B04
	s_nop 3                                                    // 000000002D3C: BF800003
	v_readfirstlane_b32 s50, v7                                // 000000002D40: 7E640507
	s_nop 3                                                    // 000000002D44: BF800003
	s_mul_i32 s49, s50, s48                                    // 000000002D48: 92313032
	s_add_i32 s49, s49, s47                                    // 000000002D4C: 81312F31
	s_add_u32 s51, s43, 63                                     // 000000002D50: 8033BF2B
	s_lshr_b32 s62, s51, 6                                     // 000000002D54: 8F3E8633
	s_lshl_b32 s62, s62, 5                                     // 000000002D58: 8E3E853E
	s_mov_b32 s47, 0                                           // 000000002D5C: BEAF0080

0000000000002d60 <label_0058>:
	s_cmp_lt_i32 s49, s62                                      // 000000002D60: BF043E31
	s_cbranch_scc1 label_005D                                  // 000000002D64: BF850003
	s_sub_i32 s49, s49, s62                                    // 000000002D68: 81B13E31
	s_add_i32 s47, s47, 32                                     // 000000002D6C: 812FA02F
	s_branch label_0058                                        // 000000002D70: BF82FFFB

0000000000002d74 <label_005D>:
	s_sub_i32 s50, s50, s47                                    // 000000002D74: 81B22F32
	s_cmp_lt_i32 s50, 32                                       // 000000002D78: BF04A032
	s_cbranch_scc1 label_0063                                  // 000000002D7C: BF850003
	s_lshr_b32 s48, s49, 5                                     // 000000002D80: 8F308531
	s_and_b32 s62, s49, 31                                     // 000000002D84: 863E9F31
	s_branch label_0083                                        // 000000002D88: BF820020

0000000000002d8c <label_0063>:
	v_cvt_f32_u32_e32 v4, s50                                  // 000000002D8C: 7E080C32
	s_sub_i32 s48, 0, s50                                      // 000000002D90: 81B03280
	v_rcp_iflag_f32_e32 v4, v4                                 // 000000002D94: 7E084704
	s_nop 0                                                    // 000000002D98: BF800000
	v_mul_f32_e32 v4, 0x4f7ffffe, v4                           // 000000002D9C: 0A0808FF 4F7FFFFE
	v_cvt_u32_f32_e32 v4, v4                                   // 000000002DA4: 7E080F04
	v_mul_lo_u32 v5, s48, v4                                   // 000000002DA8: D2850005 00020830
	v_mul_hi_u32 v5, v4, v5                                    // 000000002DB0: D2860005 00020B04
	v_add_u32_e32 v4, v4, v5                                   // 000000002DB8: 68080B04
	v_mul_hi_u32 v4, s49, v4                                   // 000000002DBC: D2860004 00020831
	v_mul_lo_u32 v5, v4, s50                                   // 000000002DC4: D2850005 00006504
	v_sub_u32_e32 v7, s49, v5                                  // 000000002DCC: 6A0E0A31
	v_add_u32_e32 v6, 1, v4                                    // 000000002DD0: 680C0881
	v_cmp_le_u32_e32 vcc, s50, v7                              // 000000002DD4: 7D960E32
	v_subrev_u32_e32 v5, s50, v7                               // 000000002DD8: 6C0A0E32
	s_nop 0                                                    // 000000002DDC: BF800000
	v_cndmask_b32_e32 v4, v4, v6, vcc                          // 000000002DE0: 00080D04
	v_cndmask_b32_e32 v7, v7, v5, vcc                          // 000000002DE4: 000E0B07
	v_add_u32_e32 v5, 1, v4                                    // 000000002DE8: 680A0881
	v_cmp_le_u32_e32 vcc, s50, v7                              // 000000002DEC: 7D960E32
	s_nop 1                                                    // 000000002DF0: BF800001
	v_cndmask_b32_e32 v7, v4, v5, vcc                          // 000000002DF4: 000E0B04
	s_nop 3                                                    // 000000002DF8: BF800003
	v_readfirstlane_b32 s48, v7                                // 000000002DFC: 7E600507
	s_nop 3                                                    // 000000002E00: BF800003
	s_mul_i32 s62, s50, s48                                    // 000000002E04: 923E3032
	s_sub_i32 s62, s49, s62                                    // 000000002E08: 81BE3E31

0000000000002e0c <label_0083>:
	s_add_i32 s47, s62, s47                                    // 000000002E0C: 812F2F3E
	s_lshr_b32 s37, s37, 1                                     // 000000002E10: 8F258125
	s_mul_i32 s62, s48, 64                                     // 000000002E14: 923EC030
	s_mul_hi_u32 s63, s37, s62                                 // 000000002E18: 963F3E25
	s_add_u32 s13, s13, s63                                    // 000000002E1C: 800D3F0D
	s_mul_i32 s63, s37, s62                                    // 000000002E20: 923F3E25
	s_add_u32 s12, s12, s63                                    // 000000002E24: 800C3F0C
	s_addc_u32 s13, s13, 0                                     // 000000002E28: 820D800D
	s_sub_i32 s63, s43, s62                                    // 000000002E2C: 81BF3E2B
	s_cmp_lt_u32 s63, 64                                       // 000000002E30: BF0AC03F
	s_cselect_b32 s62, s63, 64                                 // 000000002E34: 853EC03F
	s_mul_i32 s14, s37, s62                                    // 000000002E38: 920E3E25
	s_mov_b32 s15, 0x20000                                     // 000000002E3C: BE8F00FF 00020000
	v_lshrrev_b32_e32 v4, 3, v0                                // 000000002E44: 20080083
	v_lshrrev_b32_e32 v5, 2, v4                                // 000000002E48: 200A0882
	v_lshlrev_b32_e32 v5, 4, v5                                // 000000002E4C: 240A0A84
	v_and_b32_e32 v4, 3, v4                                    // 000000002E50: 26080883
	v_lshrrev_b32_e32 v6, 1, v4                                // 000000002E54: 200C0881
	v_lshlrev_b32_e32 v6, 2, v6                                // 000000002E58: 240C0C82
	v_add_u32_e32 v5, v5, v6                                   // 000000002E5C: 680A0D05
	v_and_b32_e32 v4, 1, v4                                    // 000000002E60: 26080881
	v_add_u32_e32 v5, v5, v4                                   // 000000002E64: 680A0905
	v_mul_lo_u32 v178, s37, v5                                 // 000000002E68: D28500B2 00020A25
	v_and_b32_e32 v4, 7, v0                                    // 000000002E70: 26080087
	v_lshlrev_b32_e32 v4, 4, v4                                // 000000002E74: 24080884
	v_add_u32_e32 v178, v4, v178                               // 000000002E78: 69656504
	s_lshr_b32 s62, s46, 1                                     // 000000002E7C: 8F3E812E
	s_mul_i32 s62, s62, 8                                      // 000000002E80: 923E883E
	s_and_b32 s63, s46, 1                                      // 000000002E84: 863F812E
	s_mul_i32 s63, s63, 2                                      // 000000002E88: 923F823F
	s_add_u32 s62, s62, s63                                    // 000000002E8C: 803E3F3E
	s_mul_i32 s62, s37, s62                                    // 000000002E90: 923E3E25
	v_add_u32_e32 v178, s62, v178                              // 000000002E94: 6965643E
	s_mul_i32 s62, s37, 32                                     // 000000002E98: 923EA025
	v_add_u32_e32 v179, s62, v178                              // 000000002E9C: 6967643E
	s_mul_i32 s64, 0x420, s46                                  // 000000002EA0: 92402EFF 00000420
	s_add_u32 s64, 0x800, s64                                  // 000000002EA8: 804040FF 00000800
	v_and_b32_e32 v4, 15, v0                                   // 000000002EB0: 2608008F
	v_lshrrev_b32_e32 v5, 3, v4                                // 000000002EB4: 200A0883
	v_mul_i32_i24_e32 v5, 2, v5                                // 000000002EB8: 0C0A0A82
	v_and_b32_e32 v4, 3, v0                                    // 000000002EBC: 26080083
	v_lshrrev_b32_e32 v6, 1, v4                                // 000000002EC0: 200C0881
	v_add_u32_e32 v4, v5, v6                                   // 000000002EC4: 68080D05
	v_mul_i32_i24_e32 v180, 0x420, v4                          // 000000002EC8: 0D6808FF 00000420
	v_and_b32_e32 v4, 7, v0                                    // 000000002ED0: 26080087
	v_lshrrev_b32_e32 v5, 2, v4                                // 000000002ED4: 200A0882
	v_mul_i32_i24_e32 v5, 0x100, v5                            // 000000002ED8: 0C0A0AFF 00000100
	v_add_u32_e32 v180, v5, v180                               // 000000002EE0: 69696905
	v_and_b32_e32 v4, 1, v0                                    // 000000002EE4: 26080081
	v_mul_i32_i24_e32 v6, 0x80, v4                             // 000000002EE8: 0C0C08FF 00000080
	v_add_u32_e32 v180, v6, v180                               // 000000002EF0: 69696906
	v_lshrrev_b32_e32 v4, 4, v0                                // 000000002EF4: 20080084
	v_mul_i32_i24_e32 v4, 16, v4                               // 000000002EF8: 0C080890
	v_add_u32_e32 v180, v4, v180                               // 000000002EFC: 69696904
	v_add_u32_e32 v180, 0x800, v180                            // 000000002F00: 696968FF 00000800
	v_add_u32_e32 v181, 0x2100, v180                           // 000000002F08: 696B68FF 00002100
	s_mul_i32 s62, s48, 64                                     // 000000002F10: 923EC030
	s_mul_hi_u32 s63, s39, s62                                 // 000000002F14: 963F3E27
	s_add_u32 s21, s21, s63                                    // 000000002F18: 80153F15
	s_mul_i32 s63, s39, s62                                    // 000000002F1C: 923F3E27
	s_add_u32 s20, s20, s63                                    // 000000002F20: 80143F14
	s_addc_u32 s21, s21, 0                                     // 000000002F24: 82158015
	s_add_u32 s63, s43, 31                                     // 000000002F28: 803F9F2B
	s_lshr_b32 s63, s63, 5                                     // 000000002F2C: 8F3F853F
	s_lshl_b32 s63, s63, 5                                     // 000000002F30: 8E3F853F
	s_sub_i32 s63, s63, s62                                    // 000000002F34: 81BF3E3F
	s_cmp_lt_u32 s63, 64                                       // 000000002F38: BF0AC03F
	s_cselect_b32 s62, s63, 64                                 // 000000002F3C: 853EC03F
	s_mul_i32 s22, s39, s62                                    // 000000002F40: 92163E27
	s_mov_b32 s23, 0x20000                                     // 000000002F44: BE9700FF 00020000
	v_lshlrev_b32_e32 v182, 2, v0                              // 000000002F4C: 256C0082
	s_mul_i32 s63, s46, 32                                     // 000000002F50: 923FA02E
	s_mul_i32 s63, s63, s39                                    // 000000002F54: 923F273F
	v_add_u32_e32 v182, s63, v182                              // 000000002F58: 696D6C3F
	s_mul_i32 s65, s46, 0x100                                  // 000000002F5C: 9241FF2E 00000100
	s_add_i32 s65, s65, 0                                      // 000000002F64: 81418041
	v_lshlrev_b32_e32 v183, 2, v0                              // 000000002F68: 256E0082
	v_add_u32_e32 v183, 0, v183                                // 000000002F6C: 696F6E80
	s_lshr_b32 s38, s38, 1                                     // 000000002F70: 8F268126
	s_mul_i32 s62, s47, 0x180                                  // 000000002F74: 923EFF2F 00000180
	s_mul_hi_u32 s63, s38, s62                                 // 000000002F7C: 963F3E26
	s_add_u32 s17, s17, s63                                    // 000000002F80: 80113F11
	s_mul_i32 s63, s38, s62                                    // 000000002F84: 923F3E26
	s_add_u32 s16, s16, s63                                    // 000000002F88: 80103F10
	s_addc_u32 s17, s17, 0                                     // 000000002F8C: 82118011
	s_sub_i32 s63, s44, s62                                    // 000000002F90: 81BF3E2C
	s_cmp_lt_u32 s63, 0x180                                    // 000000002F94: BF0AFF3F 00000180
	s_cselect_b32 s62, s63, 0x180                              // 000000002F9C: 853EFF3F 00000180
	s_mul_i32 s18, s38, s62                                    // 000000002FA4: 92123E26
	s_mov_b32 s19, 0x20000                                     // 000000002FA8: BE9300FF 00020000
	v_lshlrev_b32_e32 v184, 4, v0                              // 000000002FB0: 25700084
	s_mul_i32 s63, s46, 0x60                                   // 000000002FB4: 923FFF2E 00000060
	s_mul_i32 s62, s63, s38                                    // 000000002FBC: 923E263F
	v_add_u32_e32 v184, s62, v184                              // 000000002FC0: 6971703E
	s_mul_i32 s62, 16, s38                                     // 000000002FC4: 923E2690
	v_add_u32_e32 v185, s62, v184                              // 000000002FC8: 6973703E
	v_add_u32_e32 v186, s62, v185                              // 000000002FCC: 6975723E
	v_add_u32_e32 v187, s62, v186                              // 000000002FD0: 6977743E
	v_add_u32_e32 v188, s62, v187                              // 000000002FD4: 6979763E
	v_add_u32_e32 v189, s62, v188                              // 000000002FD8: 697B783E
	s_mul_i32 s62, s47, 0x180                                  // 000000002FDC: 923EFF2F 00000180
	s_mul_hi_u32 s63, s40, s62                                 // 000000002FE4: 963F3E28
	s_add_u32 s25, s25, s63                                    // 000000002FE8: 80193F19
	s_mul_i32 s63, s40, s62                                    // 000000002FEC: 923F3E28
	s_add_u32 s24, s24, s63                                    // 000000002FF0: 80183F18
	s_addc_u32 s25, s25, 0                                     // 000000002FF4: 82198019
	s_sub_i32 s63, s44, s62                                    // 000000002FF8: 81BF3E2C
	s_cmp_lt_u32 s63, 0x180                                    // 000000002FFC: BF0AFF3F 00000180
	s_cselect_b32 s62, s63, 0x180                              // 000000003004: 853EFF3F 00000180
	s_mul_i32 s26, s40, s62                                    // 00000000300C: 921A3E28
	s_mov_b32 s27, 0x20000                                     // 000000003010: BE9B00FF 00020000
	v_lshlrev_b32_e32 v190, 2, v0                              // 000000003018: 257C0082
	s_mul_i32 s63, s46, 0x60                                   // 00000000301C: 923FFF2E 00000060
	s_mul_i32 s63, s63, s40                                    // 000000003024: 923F283F
	v_add_u32_e32 v190, s63, v190                              // 000000003028: 697D7C3F
	s_mul_i32 s62, 32, s40                                     // 00000000302C: 923E28A0
	v_add_u32_e32 v191, s62, v190                              // 000000003030: 697F7C3E
	v_add_u32_e32 v192, s62, v191                              // 000000003034: 69817E3E
	s_mov_b32 s66, 0x80                                        // 000000003038: BEC200FF 00000080
	s_mov_b32 s67, 0x800                                       // 000000003040: BEC300FF 00000800
	s_mov_b32 s68, 0x100                                       // 000000003048: BEC400FF 00000100
	s_mov_b32 s69, 0x100                                       // 000000003050: BEC500FF 00000100
	s_mov_b32 s60, 0                                           // 000000003058: BEBC0080
	s_mov_b32 s61, s45                                         // 00000000305C: BEBD002D
	s_add_u32 m0, 0, s65                                       // 000000003060: 807C4180
	buffer_load_dword v182, s[20:23], 0 offen lds              // 000000003064: E0511000 800500B6
	v_accvgpr_write_b32 a0, 0                                  // 00000000306C: D3D94000 18000080
	v_accvgpr_write_b32 a1, 0                                  // 000000003074: D3D94001 18000080
	v_accvgpr_write_b32 a2, 0                                  // 00000000307C: D3D94002 18000080
	v_accvgpr_write_b32 a3, 0                                  // 000000003084: D3D94003 18000080
	v_accvgpr_write_b32 a4, 0                                  // 00000000308C: D3D94004 18000080
	v_accvgpr_write_b32 a5, 0                                  // 000000003094: D3D94005 18000080
	s_add_u32 m0, 0, s64                                       // 00000000309C: 807C4080
	buffer_load_dwordx4 v178, s[12:15], 0 offen lds            // 0000000030A0: E05D1000 800300B2
	v_accvgpr_write_b32 a6, 0                                  // 0000000030A8: D3D94006 18000080
	v_accvgpr_write_b32 a7, 0                                  // 0000000030B0: D3D94007 18000080
	v_accvgpr_write_b32 a8, 0                                  // 0000000030B8: D3D94008 18000080
	v_accvgpr_write_b32 a9, 0                                  // 0000000030C0: D3D94009 18000080
	v_accvgpr_write_b32 a10, 0                                 // 0000000030C8: D3D9400A 18000080
	v_accvgpr_write_b32 a11, 0                                 // 0000000030D0: D3D9400B 18000080
	s_add_u32 m0, 0x1080, s64                                  // 0000000030D8: 807C40FF 00001080
	buffer_load_dwordx4 v179, s[12:15], 0 offen lds            // 0000000030E0: E05D1000 800300B3
	v_accvgpr_write_b32 a12, 0                                 // 0000000030E8: D3D9400C 18000080
	v_accvgpr_write_b32 a13, 0                                 // 0000000030F0: D3D9400D 18000080
	v_accvgpr_write_b32 a14, 0                                 // 0000000030F8: D3D9400E 18000080
	v_accvgpr_write_b32 a15, 0                                 // 000000003100: D3D9400F 18000080
	v_accvgpr_write_b32 a16, 0                                 // 000000003108: D3D94010 18000080
	v_accvgpr_write_b32 a17, 0                                 // 000000003110: D3D94011 18000080
	buffer_load_dwordx4 v[72:75], v184, s[16:19], 0 offen      // 000000003118: E05C1000 800448B8
	v_accvgpr_write_b32 a18, 0                                 // 000000003120: D3D94012 18000080
	v_accvgpr_write_b32 a19, 0                                 // 000000003128: D3D94013 18000080
	v_accvgpr_write_b32 a20, 0                                 // 000000003130: D3D94014 18000080
	v_accvgpr_write_b32 a21, 0                                 // 000000003138: D3D94015 18000080
	v_accvgpr_write_b32 a22, 0                                 // 000000003140: D3D94016 18000080
	v_accvgpr_write_b32 a23, 0                                 // 000000003148: D3D94017 18000080
	buffer_load_dwordx4 v[76:79], v185, s[16:19], 0 offen      // 000000003150: E05C1000 80044CB9
	v_accvgpr_write_b32 a24, 0                                 // 000000003158: D3D94018 18000080
	v_accvgpr_write_b32 a25, 0                                 // 000000003160: D3D94019 18000080
	v_accvgpr_write_b32 a26, 0                                 // 000000003168: D3D9401A 18000080
	v_accvgpr_write_b32 a27, 0                                 // 000000003170: D3D9401B 18000080
	v_accvgpr_write_b32 a28, 0                                 // 000000003178: D3D9401C 18000080
	v_accvgpr_write_b32 a29, 0                                 // 000000003180: D3D9401D 18000080
	buffer_load_dwordx4 v[80:83], v184, s[16:19], 0 offen offset:1024// 000000003188: E05C1400 800450B8
	v_accvgpr_write_b32 a30, 0                                 // 000000003190: D3D9401E 18000080
	v_accvgpr_write_b32 a31, 0                                 // 000000003198: D3D9401F 18000080
	v_accvgpr_write_b32 a32, 0                                 // 0000000031A0: D3D94020 18000080
	v_accvgpr_write_b32 a33, 0                                 // 0000000031A8: D3D94021 18000080
	v_accvgpr_write_b32 a34, 0                                 // 0000000031B0: D3D94022 18000080
	v_accvgpr_write_b32 a35, 0                                 // 0000000031B8: D3D94023 18000080
	buffer_load_dwordx4 v[84:87], v185, s[16:19], 0 offen offset:1024// 0000000031C0: E05C1400 800454B9
	v_accvgpr_write_b32 a36, 0                                 // 0000000031C8: D3D94024 18000080
	v_accvgpr_write_b32 a37, 0                                 // 0000000031D0: D3D94025 18000080
	v_accvgpr_write_b32 a38, 0                                 // 0000000031D8: D3D94026 18000080
	v_accvgpr_write_b32 a39, 0                                 // 0000000031E0: D3D94027 18000080
	v_accvgpr_write_b32 a40, 0                                 // 0000000031E8: D3D94028 18000080
	v_accvgpr_write_b32 a41, 0                                 // 0000000031F0: D3D94029 18000080
	buffer_load_dword v172, v190, s[24:27], 0 offen            // 0000000031F8: E0501000 8006ACBE
	v_accvgpr_write_b32 a42, 0                                 // 000000003200: D3D9402A 18000080
	v_accvgpr_write_b32 a43, 0                                 // 000000003208: D3D9402B 18000080
	v_accvgpr_write_b32 a44, 0                                 // 000000003210: D3D9402C 18000080
	v_accvgpr_write_b32 a45, 0                                 // 000000003218: D3D9402D 18000080
	v_accvgpr_write_b32 a46, 0                                 // 000000003220: D3D9402E 18000080
	v_accvgpr_write_b32 a47, 0                                 // 000000003228: D3D9402F 18000080
	s_add_u32 s62, 0x100, s60                                  // 000000003230: 803E3CFF 00000100
	s_cmp_lt_u32 s62, s61                                      // 000000003238: BF0A3D3E
	s_cselect_b32 s66, s66, 0                                  // 00000000323C: 85428042
	s_cselect_b32 s68, s68, 0                                  // 000000003240: 85448044
	s_add_u32 s12, s12, s66                                    // 000000003244: 800C420C
	s_addc_u32 s13, 0, s13                                     // 000000003248: 820D0D80
	s_sub_u32 s14, s14, s66                                    // 00000000324C: 808E420E
	s_add_u32 s20, s20, s68                                    // 000000003250: 80144414
	s_addc_u32 s21, 0, s21                                     // 000000003254: 82151580
	s_sub_u32 s22, s22, s68                                    // 000000003258: 80964416
	buffer_load_dwordx4 v[88:91], v186, s[16:19], 0 offen      // 00000000325C: E05C1000 800458BA
	v_accvgpr_write_b32 a48, 0                                 // 000000003264: D3D94030 18000080
	v_accvgpr_write_b32 a49, 0                                 // 00000000326C: D3D94031 18000080
	v_accvgpr_write_b32 a50, 0                                 // 000000003274: D3D94032 18000080
	v_accvgpr_write_b32 a51, 0                                 // 00000000327C: D3D94033 18000080
	v_accvgpr_write_b32 a52, 0                                 // 000000003284: D3D94034 18000080
	v_accvgpr_write_b32 a53, 0                                 // 00000000328C: D3D94035 18000080
	buffer_load_dwordx4 v[92:95], v187, s[16:19], 0 offen      // 000000003294: E05C1000 80045CBB
	v_accvgpr_write_b32 a54, 0                                 // 00000000329C: D3D94036 18000080
	v_accvgpr_write_b32 a55, 0                                 // 0000000032A4: D3D94037 18000080
	v_accvgpr_write_b32 a56, 0                                 // 0000000032AC: D3D94038 18000080
	v_accvgpr_write_b32 a57, 0                                 // 0000000032B4: D3D94039 18000080
	v_accvgpr_write_b32 a58, 0                                 // 0000000032BC: D3D9403A 18000080
	v_accvgpr_write_b32 a59, 0                                 // 0000000032C4: D3D9403B 18000080
	buffer_load_dwordx4 v[96:99], v186, s[16:19], 0 offen offset:1024// 0000000032CC: E05C1400 800460BA
	v_accvgpr_write_b32 a60, 0                                 // 0000000032D4: D3D9403C 18000080
	v_accvgpr_write_b32 a61, 0                                 // 0000000032DC: D3D9403D 18000080
	v_accvgpr_write_b32 a62, 0                                 // 0000000032E4: D3D9403E 18000080
	v_accvgpr_write_b32 a63, 0                                 // 0000000032EC: D3D9403F 18000080
	v_accvgpr_write_b32 a64, 0                                 // 0000000032F4: D3D94040 18000080
	v_accvgpr_write_b32 a65, 0                                 // 0000000032FC: D3D94041 18000080
	buffer_load_dwordx4 v[100:103], v187, s[16:19], 0 offen offset:1024// 000000003304: E05C1400 800464BB
	v_accvgpr_write_b32 a66, 0                                 // 00000000330C: D3D94042 18000080
	v_accvgpr_write_b32 a67, 0                                 // 000000003314: D3D94043 18000080
	v_accvgpr_write_b32 a68, 0                                 // 00000000331C: D3D94044 18000080
	v_accvgpr_write_b32 a69, 0                                 // 000000003324: D3D94045 18000080
	v_accvgpr_write_b32 a70, 0                                 // 00000000332C: D3D94046 18000080
	v_accvgpr_write_b32 a71, 0                                 // 000000003334: D3D94047 18000080
	buffer_load_dword v173, v191, s[24:27], 0 offen            // 00000000333C: E0501000 8006ADBF
	v_accvgpr_write_b32 a72, 0                                 // 000000003344: D3D94048 18000080
	v_accvgpr_write_b32 a73, 0                                 // 00000000334C: D3D94049 18000080
	v_accvgpr_write_b32 a74, 0                                 // 000000003354: D3D9404A 18000080
	v_accvgpr_write_b32 a75, 0                                 // 00000000335C: D3D9404B 18000080
	v_accvgpr_write_b32 a76, 0                                 // 000000003364: D3D9404C 18000080
	v_accvgpr_write_b32 a77, 0                                 // 00000000336C: D3D9404D 18000080
	buffer_load_dwordx4 v[104:107], v188, s[16:19], 0 offen    // 000000003374: E05C1000 800468BC
	v_accvgpr_write_b32 a78, 0                                 // 00000000337C: D3D9404E 18000080
	v_accvgpr_write_b32 a79, 0                                 // 000000003384: D3D9404F 18000080
	v_accvgpr_write_b32 a80, 0                                 // 00000000338C: D3D94050 18000080
	v_accvgpr_write_b32 a81, 0                                 // 000000003394: D3D94051 18000080
	v_accvgpr_write_b32 a82, 0                                 // 00000000339C: D3D94052 18000080
	v_accvgpr_write_b32 a83, 0                                 // 0000000033A4: D3D94053 18000080
	buffer_load_dwordx4 v[108:111], v189, s[16:19], 0 offen    // 0000000033AC: E05C1000 80046CBD
	v_accvgpr_write_b32 a84, 0                                 // 0000000033B4: D3D94054 18000080
	v_accvgpr_write_b32 a85, 0                                 // 0000000033BC: D3D94055 18000080
	v_accvgpr_write_b32 a86, 0                                 // 0000000033C4: D3D94056 18000080
	v_accvgpr_write_b32 a87, 0                                 // 0000000033CC: D3D94057 18000080
	v_accvgpr_write_b32 a88, 0                                 // 0000000033D4: D3D94058 18000080
	v_accvgpr_write_b32 a89, 0                                 // 0000000033DC: D3D94059 18000080
	buffer_load_dwordx4 v[112:115], v188, s[16:19], 0 offen offset:1024// 0000000033E4: E05C1400 800470BC
	v_accvgpr_write_b32 a90, 0                                 // 0000000033EC: D3D9405A 18000080
	v_accvgpr_write_b32 a91, 0                                 // 0000000033F4: D3D9405B 18000080
	v_accvgpr_write_b32 a92, 0                                 // 0000000033FC: D3D9405C 18000080
	v_accvgpr_write_b32 a93, 0                                 // 000000003404: D3D9405D 18000080
	v_accvgpr_write_b32 a94, 0                                 // 00000000340C: D3D9405E 18000080
	v_accvgpr_write_b32 a95, 0                                 // 000000003414: D3D9405F 18000080
	buffer_load_dwordx4 v[116:119], v189, s[16:19], 0 offen offset:1024// 00000000341C: E05C1400 800474BD
	buffer_load_dword v174, v192, s[24:27], 0 offen            // 000000003424: E0501000 8006AEC0
	s_add_u32 s63, 0x100, s60                                  // 00000000342C: 803F3CFF 00000100
	s_cmp_lt_u32 s63, s61                                      // 000000003434: BF0A3D3F
	s_cselect_b32 s67, s67, 0                                  // 000000003438: 85438043
	s_cselect_b32 s69, s69, 0                                  // 00000000343C: 85458045
	s_add_u32 s16, s16, s67                                    // 000000003440: 80104310
	s_addc_u32 s17, 0, s17                                     // 000000003444: 82111180
	s_sub_u32 s18, s18, s67                                    // 000000003448: 80924312
	s_add_u32 s24, s24, s69                                    // 00000000344C: 80184518
	s_addc_u32 s25, 0, s25                                     // 000000003450: 82191980
	s_sub_u32 s26, s26, s69                                    // 000000003454: 809A451A
	s_waitcnt vmcnt(15)                                        // 000000003458: BF8C0F7F
	s_barrier                                                  // 00000000345C: BF8A0000
	ds_read_b128 v[8:11], v180                                 // 000000003460: D9FE0000 080000B4
	ds_read_b128 v[16:19], v180 offset:64                      // 000000003468: D9FE0040 100000B4
	ds_read_b128 v[12:15], v180 offset:512                     // 000000003470: D9FE0200 0C0000B4
	ds_read_b128 v[20:23], v180 offset:576                     // 000000003478: D9FE0240 140000B4
	ds_read_b32 v168, v183                                     // 000000003480: D86C0000 A80000B7
	ds_read_b128 v[24:27], v180 offset:4224                    // 000000003488: D9FE1080 180000B4
	ds_read_b128 v[32:35], v180 offset:4288                    // 000000003490: D9FE10C0 200000B4
	ds_read_b128 v[28:31], v180 offset:4736                    // 000000003498: D9FE1280 1C0000B4
	ds_read_b128 v[36:39], v180 offset:4800                    // 0000000034A0: D9FE12C0 240000B4
	ds_read_b32 v169, v183 offset:256                          // 0000000034A8: D86C0100 A90000B7
	s_nop 0                                                    // 0000000034B0: BF800000
	s_nop 0                                                    // 0000000034B4: BF800000
	s_nop 0                                                    // 0000000034B8: BF800000
	s_nop 0                                                    // 0000000034BC: BF800000
	s_nop 0                                                    // 0000000034C0: BF800000
	s_lshl_b32 s36, s36, 1                                     // 0000000034C4: 8E248124
	s_mul_i32 s62, s48, 64                                     // 0000000034C8: 923EC030
	s_mul_hi_u32 s63, s36, s62                                 // 0000000034CC: 963F3E24
	s_add_u32 s5, s5, s63                                      // 0000000034D0: 80053F05
	s_mul_i32 s63, s36, s62                                    // 0000000034D4: 923F3E24
	s_add_u32 s4, s4, s63                                      // 0000000034D8: 80043F04
	s_addc_u32 s5, s5, 0                                       // 0000000034DC: 82058005
	s_mul_i32 s63, s47, 0x180                                  // 0000000034E0: 923FFF2F 00000180
	s_lshl_b32 s63, s63, 1                                     // 0000000034E8: 8E3F813F
	s_add_u32 s4, s4, s63                                      // 0000000034EC: 80043F04
	s_addc_u32 s5, s5, 0                                       // 0000000034F0: 82058005
	s_sub_i32 s62, s43, s62                                    // 0000000034F4: 81BE3E2B
	s_cmp_lt_u32 s62, 64                                       // 0000000034F8: BF0AC03E
	s_cselect_b32 s62, s62, 64                                 // 0000000034FC: 853EC03E
	s_mul_i32 s62, s36, s62                                    // 000000003500: 923E3E24
	s_sub_i32 s6, s62, s63                                     // 000000003504: 81863F3E
	s_mov_b32 s7, 0x20000                                      // 000000003508: BE8700FF 00020000
	s_mul_i32 s62, s46, 0x60                                   // 000000003510: 923EFF2E 00000060
	s_lshl_b32 s62, s62, 1                                     // 000000003518: 8E3E813E
	v_lshrrev_b32_e32 v4, 5, v0                                // 00000000351C: 20080085
	v_mul_i32_i24_e32 v4, 16, v4                               // 000000003520: 0C080890
	v_lshrrev_b32_e32 v5, 4, v0                                // 000000003524: 200A0084
	v_and_b32_e32 v5, 1, v5                                    // 000000003528: 260A0A81
	v_mul_i32_i24_e32 v5, 32, v5                               // 00000000352C: 0C0A0AA0
	v_add_u32_e32 v4, v4, v5                                   // 000000003530: 68080B04
	v_and_b32_e32 v5, 15, v0                                   // 000000003534: 260A008F
	v_mul_lo_u32 v193, s36, v5                                 // 000000003538: D28500C1 00020A24
	v_add_u32_e32 v193, s62, v193                              // 000000003540: 6983823E
	v_add_u32_e32 v193, v4, v193                               // 000000003544: 69838304
	s_cmp_lt_i32 s46, 2                                        // 000000003548: BF04822E
	s_cbranch_scc0 label_048B                                  // 00000000354C: BF840237

0000000000003550 <label_0254>:
	s_waitcnt vmcnt(10) lgkmcnt(5)                             // 000000003550: BF8C057A
	v_mfma_scale_f32_16x16x128_f8f6f4 a[0:3], v[72:75], v[8:11], a[0:3], v172, v168 op_sel_hi:[0,0,0] cbsz:4 blgp:4// 000000003554: D3AC6000 000351AC D3AD8C00 84021148
	v_mfma_scale_f32_16x16x128_f8f6f4 a[4:7], v[72:75], v[12:15], a[4:7], v172, v168 op_sel_hi:[0,0,0] cbsz:4 blgp:4// 000000003564: D3AC7000 000351AC D3AD8C04 84121948
	s_add_u32 m0, 0x400, s65                                   // 000000003574: 807C41FF 00000400
	buffer_load_dword v182, s[20:23], 0 offen lds              // 00000000357C: E0511000 800500B6
	v_mfma_scale_f32_16x16x128_f8f6f4 a[8:11], v[76:79], v[8:11], a[8:11], v172, v168 op_sel_hi:[0,0,0] cbsz:4 blgp:4// 000000003584: D3AC6800 000351AC D3AD8C08 8422114C
	v_mfma_scale_f32_16x16x128_f8f6f4 a[12:15], v[76:79], v[12:15], a[12:15], v172, v168 op_sel_hi:[0,0,0] cbsz:4 blgp:4// 000000003594: D3AC7800 000351AC D3AD8C0C 8432194C
	s_add_u32 m0, 0x2100, s64                                  // 0000000035A4: 807C40FF 00002100
	buffer_load_dwordx4 v178, s[12:15], 0 offen lds            // 0000000035AC: E05D1000 800300B2
	v_mfma_scale_f32_16x16x128_f8f6f4 a[0:3], v[80:83], v[16:19], a[0:3], v172, v168 op_sel_hi:[0,0,0] cbsz:4 blgp:4// 0000000035B4: D3AC6000 180351AC D3AD8C00 84022150
	v_mfma_scale_f32_16x16x128_f8f6f4 a[4:7], v[80:83], v[20:23], a[4:7], v172, v168 op_sel_hi:[0,0,0] cbsz:4 blgp:4// 0000000035C4: D3AC7000 180351AC D3AD8C04 84122950
	s_add_u32 m0, 0x3180, s64                                  // 0000000035D4: 807C40FF 00003180
	buffer_load_dwordx4 v179, s[12:15], 0 offen lds            // 0000000035DC: E05D1000 800300B3
	v_mfma_scale_f32_16x16x128_f8f6f4 a[8:11], v[84:87], v[16:19], a[8:11], v172, v168 op_sel_hi:[0,0,0] cbsz:4 blgp:4// 0000000035E4: D3AC6800 180351AC D3AD8C08 84222154
	s_add_u32 s62, 0x200, s60                                  // 0000000035F4: 803E3CFF 00000200
	s_cmp_lt_u32 s62, s61                                      // 0000000035FC: BF0A3D3E
	v_mfma_scale_f32_16x16x128_f8f6f4 a[12:15], v[84:87], v[20:23], a[12:15], v172, v168 op_sel_hi:[0,0,0] cbsz:4 blgp:4// 000000003600: D3AC7800 180351AC D3AD8C0C 84322954
	s_cselect_b32 s66, s66, 0                                  // 000000003610: 85428042
	buffer_load_dwordx4 v[120:123], v184, s[16:19], 0 offen    // 000000003614: E05C1000 800478B8
	s_waitcnt lgkmcnt(0)                                       // 00000000361C: BF8CC07F
	v_mfma_scale_f32_16x16x128_f8f6f4 a[48:51], v[72:75], v[24:27], a[48:51], v172, v169 op_sel_hi:[0,0,0] cbsz:4 blgp:4// 000000003620: D3AC6000 000353AC D3AD8C30 84C23148
	s_cselect_b32 s68, s68, 0                                  // 000000003630: 85448044
	s_add_u32 s12, s12, s66                                    // 000000003634: 800C420C
	v_mfma_scale_f32_16x16x128_f8f6f4 a[52:55], v[72:75], v[28:31], a[52:55], v172, v169 op_sel_hi:[0,0,0] cbsz:4 blgp:4// 000000003638: D3AC7000 000353AC D3AD8C34 84D23948
	s_addc_u32 s13, 0, s13                                     // 000000003648: 820D0D80
	buffer_load_dwordx4 v[124:127], v185, s[16:19], 0 offen    // 00000000364C: E05C1000 80047CB9
	v_mfma_scale_f32_16x16x128_f8f6f4 a[56:59], v[76:79], v[24:27], a[56:59], v172, v169 op_sel_hi:[0,0,0] cbsz:4 blgp:4// 000000003654: D3AC6800 000353AC D3AD8C38 84E2314C
	s_sub_u32 s14, s14, s66                                    // 000000003664: 808E420E
	s_add_u32 s20, s20, s68                                    // 000000003668: 80144414
	v_mfma_scale_f32_16x16x128_f8f6f4 a[60:63], v[76:79], v[28:31], a[60:63], v172, v169 op_sel_hi:[0,0,0] cbsz:4 blgp:4// 00000000366C: D3AC7800 000353AC D3AD8C3C 84F2394C
	s_addc_u32 s21, 0, s21                                     // 00000000367C: 82151580
	buffer_load_dwordx4 v[128:131], v184, s[16:19], 0 offen offset:1024// 000000003680: E05C1400 800480B8
	v_mfma_scale_f32_16x16x128_f8f6f4 a[48:51], v[80:83], v[32:35], a[48:51], v172, v169 op_sel_hi:[0,0,0] cbsz:4 blgp:4// 000000003688: D3AC6000 180353AC D3AD8C30 84C24150
	s_sub_u32 s22, s22, s68                                    // 000000003698: 80964416
	v_mfma_scale_f32_16x16x128_f8f6f4 a[52:55], v[80:83], v[36:39], a[52:55], v172, v169 op_sel_hi:[0,0,0] cbsz:4 blgp:4// 00000000369C: D3AC7000 180353AC D3AD8C34 84D24950
	buffer_load_dwordx4 v[132:135], v185, s[16:19], 0 offen offset:1024// 0000000036AC: E05C1400 800484B9
	v_mfma_scale_f32_16x16x128_f8f6f4 a[56:59], v[84:87], v[32:35], a[56:59], v172, v169 op_sel_hi:[0,0,0] cbsz:4 blgp:4// 0000000036B4: D3AC6800 180353AC D3AD8C38 84E24154
	v_mfma_scale_f32_16x16x128_f8f6f4 a[60:63], v[84:87], v[36:39], a[60:63], v172, v169 op_sel_hi:[0,0,0] cbsz:4 blgp:4// 0000000036C4: D3AC7800 180353AC D3AD8C3C 84F24954
	buffer_load_dword v175, v190, s[24:27], 0 offen            // 0000000036D4: E0501000 8006AFBE
	s_waitcnt vmcnt(13)                                        // 0000000036DC: BF8C0F7D
	v_mfma_scale_f32_16x16x128_f8f6f4 a[16:19], v[88:91], v[8:11], a[16:19], v173, v168 op_sel_hi:[0,0,0] cbsz:4 blgp:4// 0000000036E0: D3AC6000 000351AD D3AD8C10 84421158
	v_mfma_scale_f32_16x16x128_f8f6f4 a[20:23], v[88:91], v[12:15], a[20:23], v173, v168 op_sel_hi:[0,0,0] cbsz:4 blgp:4// 0000000036F0: D3AC7000 000351AD D3AD8C14 84521958
	buffer_load_dwordx4 v[136:139], v186, s[16:19], 0 offen    // 000000003700: E05C1000 800488BA
	v_mfma_scale_f32_16x16x128_f8f6f4 a[24:27], v[92:95], v[8:11], a[24:27], v173, v168 op_sel_hi:[0,0,0] cbsz:4 blgp:4// 000000003708: D3AC6800 000351AD D3AD8C18 8462115C
	v_mfma_scale_f32_16x16x128_f8f6f4 a[28:31], v[92:95], v[12:15], a[28:31], v173, v168 op_sel_hi:[0,0,0] cbsz:4 blgp:4// 000000003718: D3AC7800 000351AD D3AD8C1C 8472195C
	buffer_load_dwordx4 v[140:143], v187, s[16:19], 0 offen    // 000000003728: E05C1000 80048CBB
	v_mfma_scale_f32_16x16x128_f8f6f4 a[16:19], v[96:99], v[16:19], a[16:19], v173, v168 op_sel_hi:[0,0,0] cbsz:4 blgp:4// 000000003730: D3AC6000 180351AD D3AD8C10 84422160
	v_mfma_scale_f32_16x16x128_f8f6f4 a[20:23], v[96:99], v[20:23], a[20:23], v173, v168 op_sel_hi:[0,0,0] cbsz:4 blgp:4// 000000003740: D3AC7000 180351AD D3AD8C14 84522960
	buffer_load_dwordx4 v[144:147], v186, s[16:19], 0 offen offset:1024// 000000003750: E05C1400 800490BA
	v_mfma_scale_f32_16x16x128_f8f6f4 a[24:27], v[100:103], v[16:19], a[24:27], v173, v168 op_sel_hi:[0,0,0] cbsz:4 blgp:4// 000000003758: D3AC6800 180351AD D3AD8C18 84622164
	v_mfma_scale_f32_16x16x128_f8f6f4 a[28:31], v[100:103], v[20:23], a[28:31], v173, v168 op_sel_hi:[0,0,0] cbsz:4 blgp:4// 000000003768: D3AC7800 180351AD D3AD8C1C 84722964
	buffer_load_dwordx4 v[148:151], v187, s[16:19], 0 offen offset:1024// 000000003778: E05C1400 800494BB
	v_mfma_scale_f32_16x16x128_f8f6f4 a[64:67], v[88:91], v[24:27], a[64:67], v173, v169 op_sel_hi:[0,0,0] cbsz:4 blgp:4// 000000003780: D3AC6000 000353AD D3AD8C40 85023158
	v_mfma_scale_f32_16x16x128_f8f6f4 a[68:71], v[88:91], v[28:31], a[68:71], v173, v169 op_sel_hi:[0,0,0] cbsz:4 blgp:4// 000000003790: D3AC7000 000353AD D3AD8C44 85123958
	buffer_load_dword v176, v191, s[24:27], 0 offen            // 0000000037A0: E0501000 8006B0BF
	v_mfma_scale_f32_16x16x128_f8f6f4 a[72:75], v[92:95], v[24:27], a[72:75], v173, v169 op_sel_hi:[0,0,0] cbsz:4 blgp:4// 0000000037A8: D3AC6800 000353AD D3AD8C48 8522315C
	v_mfma_scale_f32_16x16x128_f8f6f4 a[76:79], v[92:95], v[28:31], a[76:79], v173, v169 op_sel_hi:[0,0,0] cbsz:4 blgp:4// 0000000037B8: D3AC7800 000353AD D3AD8C4C 8532395C
	v_mfma_scale_f32_16x16x128_f8f6f4 a[64:67], v[96:99], v[32:35], a[64:67], v173, v169 op_sel_hi:[0,0,0] cbsz:4 blgp:4// 0000000037C8: D3AC6000 180353AD D3AD8C40 85024160
	v_mfma_scale_f32_16x16x128_f8f6f4 a[68:71], v[96:99], v[36:39], a[68:71], v173, v169 op_sel_hi:[0,0,0] cbsz:4 blgp:4// 0000000037D8: D3AC7000 180353AD D3AD8C44 85124960
	v_mfma_scale_f32_16x16x128_f8f6f4 a[72:75], v[100:103], v[32:35], a[72:75], v173, v169 op_sel_hi:[0,0,0] cbsz:4 blgp:4// 0000000037E8: D3AC6800 180353AD D3AD8C48 85224164
	v_mfma_scale_f32_16x16x128_f8f6f4 a[76:79], v[100:103], v[36:39], a[76:79], v173, v169 op_sel_hi:[0,0,0] cbsz:4 blgp:4// 0000000037F8: D3AC7800 180353AD D3AD8C4C 85324964
	s_waitcnt vmcnt(10)                                        // 000000003808: BF8C0F7A
	s_barrier                                                  // 00000000380C: BF8A0000
	v_mfma_scale_f32_16x16x128_f8f6f4 a[32:35], v[104:107], v[8:11], a[32:35], v174, v168 op_sel_hi:[0,0,0] cbsz:4 blgp:4// 000000003810: D3AC6000 000351AE D3AD8C20 84821168
	s_add_u32 s63, 0x200, s60                                  // 000000003820: 803F3CFF 00000200
	ds_read_b128 v[40:43], v181                                // 000000003828: D9FE0000 280000B5
	v_mfma_scale_f32_16x16x128_f8f6f4 a[36:39], v[104:107], v[12:15], a[36:39], v174, v168 op_sel_hi:[0,0,0] cbsz:4 blgp:4// 000000003830: D3AC7000 000351AE D3AD8C24 84921968
	s_cmp_lt_u32 s63, s61                                      // 000000003840: BF0A3D3F
	buffer_load_dwordx4 v[152:155], v188, s[16:19], 0 offen    // 000000003844: E05C1000 800498BC
	v_mfma_scale_f32_16x16x128_f8f6f4 a[40:43], v[108:111], v[8:11], a[40:43], v174, v168 op_sel_hi:[0,0,0] cbsz:4 blgp:4// 00000000384C: D3AC6800 000351AE D3AD8C28 84A2116C
	s_cselect_b32 s67, s67, 0                                  // 00000000385C: 85438043
	ds_read_b128 v[48:51], v181 offset:64                      // 000000003860: D9FE0040 300000B5
	v_mfma_scale_f32_16x16x128_f8f6f4 a[44:47], v[108:111], v[12:15], a[44:47], v174, v168 op_sel_hi:[0,0,0] cbsz:4 blgp:4// 000000003868: D3AC5800 000351AE D3AD8C2C 84B2196C
	s_cselect_b32 s69, s69, 0                                  // 000000003878: 85458045
	buffer_load_dwordx4 v[156:159], v189, s[16:19], 0 offen    // 00000000387C: E05C1000 80049CBD
	v_mfma_scale_f32_16x16x128_f8f6f4 a[32:35], v[112:115], v[16:19], a[32:35], v174, v168 op_sel_hi:[0,0,0] cbsz:4 blgp:4// 000000003884: D3AC6000 180351AE D3AD8C20 84822170
	ds_read_b128 v[44:47], v181 offset:512                     // 000000003894: D9FE0200 2C0000B5
	v_mfma_scale_f32_16x16x128_f8f6f4 a[36:39], v[112:115], v[20:23], a[36:39], v174, v168 op_sel_hi:[0,0,0] cbsz:4 blgp:4// 00000000389C: D3AC7000 180351AE D3AD8C24 84922970
	buffer_load_dwordx4 v[160:163], v188, s[16:19], 0 offen offset:1024// 0000000038AC: E05C1400 8004A0BC
	v_mfma_scale_f32_16x16x128_f8f6f4 a[40:43], v[116:119], v[16:19], a[40:43], v174, v168 op_sel_hi:[0,0,0] cbsz:4 blgp:4// 0000000038B4: D3AC6800 180351AE D3AD8C28 84A22174
	ds_read_b128 v[52:55], v181 offset:576                     // 0000000038C4: D9FE0240 340000B5
	v_mfma_scale_f32_16x16x128_f8f6f4 a[44:47], v[116:119], v[20:23], a[44:47], v174, v168 op_sel_hi:[0,0,0] cbsz:4 blgp:4// 0000000038CC: D3AC7800 180351AE D3AD8C2C 84B22974
	buffer_load_dwordx4 v[164:167], v189, s[16:19], 0 offen offset:1024// 0000000038DC: E05C1400 8004A4BD
	ds_read_b32 v170, v183 offset:1024                         // 0000000038E4: D86C0400 AA0000B7
	v_mfma_scale_f32_16x16x128_f8f6f4 a[80:83], v[104:107], v[24:27], a[80:83], v174, v169 op_sel_hi:[0,0,0] cbsz:4 blgp:4// 0000000038EC: D3AC6000 000353AE D3AD8C50 85423168
	ds_read_b128 v[56:59], v181 offset:4224                    // 0000000038FC: D9FE1080 380000B5
	v_mfma_scale_f32_16x16x128_f8f6f4 a[84:87], v[104:107], v[28:31], a[84:87], v174, v169 op_sel_hi:[0,0,0] cbsz:4 blgp:4// 000000003904: D3AC7000 000353AE D3AD8C54 85523968
	buffer_load_dword v177, v192, s[24:27], 0 offen            // 000000003914: E0501000 8006B1C0
	v_mfma_scale_f32_16x16x128_f8f6f4 a[88:91], v[108:111], v[24:27], a[88:91], v174, v169 op_sel_hi:[0,0,0] cbsz:4 blgp:4// 00000000391C: D3AC6800 000353AE D3AD8C58 8562316C
	s_add_u32 s16, s16, s67                                    // 00000000392C: 80104310
	ds_read_b128 v[64:67], v181 offset:4288                    // 000000003930: D9FE10C0 400000B5
	v_mfma_scale_f32_16x16x128_f8f6f4 a[92:95], v[108:111], v[28:31], a[92:95], v174, v169 op_sel_hi:[0,0,0] cbsz:4 blgp:4// 000000003938: D3AC7800 000353AE D3AD8C5C 8572396C
	s_addc_u32 s17, 0, s17                                     // 000000003948: 82111180
	s_sub_u32 s18, s18, s67                                    // 00000000394C: 80924312
	v_mfma_scale_f32_16x16x128_f8f6f4 a[80:83], v[112:115], v[32:35], a[80:83], v174, v169 op_sel_hi:[0,0,0] cbsz:4 blgp:4// 000000003950: D3AC6000 180353AE D3AD8C50 85424170
	s_add_u32 s24, s24, s69                                    // 000000003960: 80184518
	ds_read_b128 v[60:63], v181 offset:4736                    // 000000003964: D9FE1280 3C0000B5
	v_mfma_scale_f32_16x16x128_f8f6f4 a[84:87], v[112:115], v[36:39], a[84:87], v174, v169 op_sel_hi:[0,0,0] cbsz:4 blgp:4// 00000000396C: D3AC7000 180353AE D3AD8C54 85524970
	s_addc_u32 s25, 0, s25                                     // 00000000397C: 82191980
	s_sub_u32 s26, s26, s69                                    // 000000003980: 809A451A
	v_mfma_scale_f32_16x16x128_f8f6f4 a[88:91], v[116:119], v[32:35], a[88:91], v174, v169 op_sel_hi:[0,0,0] cbsz:4 blgp:4// 000000003984: D3AC6800 180353AE D3AD8C58 85624174
	s_addk_i32 s60, 0x100                                      // 000000003994: B73C0100
	ds_read_b128 v[68:71], v181 offset:4800                    // 000000003998: D9FE12C0 440000B5
	v_mfma_scale_f32_16x16x128_f8f6f4 a[92:95], v[116:119], v[36:39], a[92:95], v174, v169 op_sel_hi:[0,0,0] cbsz:4 blgp:4// 0000000039A0: D3AC7800 180353AE D3AD8C5C 85724974
	s_cmp_lt_i32 s60, s61                                      // 0000000039B0: BF043D3C
	ds_read_b32 v171, v183 offset:1280                         // 0000000039B4: D86C0500 AB0000B7
	s_cbranch_scc0 label_06C2                                  // 0000000039BC: BF840352
	s_waitcnt vmcnt(10) lgkmcnt(5)                             // 0000000039C0: BF8C057A
	v_mfma_scale_f32_16x16x128_f8f6f4 a[0:3], v[120:123], v[40:43], a[0:3], v175, v170 op_sel_hi:[0,0,0] cbsz:4 blgp:4// 0000000039C4: D3AC6000 000355AF D3AD8C00 84025178
	v_mfma_scale_f32_16x16x128_f8f6f4 a[4:7], v[120:123], v[44:47], a[4:7], v175, v170 op_sel_hi:[0,0,0] cbsz:4 blgp:4// 0000000039D4: D3AC7000 000355AF D3AD8C04 84125978
	s_add_u32 m0, 0, s65                                       // 0000000039E4: 807C4180
	buffer_load_dword v182, s[20:23], 0 offen lds              // 0000000039E8: E0511000 800500B6
	v_mfma_scale_f32_16x16x128_f8f6f4 a[8:11], v[124:127], v[40:43], a[8:11], v175, v170 op_sel_hi:[0,0,0] cbsz:4 blgp:4// 0000000039F0: D3AC6800 000355AF D3AD8C08 8422517C
	v_mfma_scale_f32_16x16x128_f8f6f4 a[12:15], v[124:127], v[44:47], a[12:15], v175, v170 op_sel_hi:[0,0,0] cbsz:4 blgp:4// 000000003A00: D3AC7800 000355AF D3AD8C0C 8432597C
	s_add_u32 m0, 0, s64                                       // 000000003A10: 807C4080
	buffer_load_dwordx4 v178, s[12:15], 0 offen lds            // 000000003A14: E05D1000 800300B2
	v_mfma_scale_f32_16x16x128_f8f6f4 a[0:3], v[128:131], v[48:51], a[0:3], v175, v170 op_sel_hi:[0,0,0] cbsz:4 blgp:4// 000000003A1C: D3AC6000 180355AF D3AD8C00 84026180
	v_mfma_scale_f32_16x16x128_f8f6f4 a[4:7], v[128:131], v[52:55], a[4:7], v175, v170 op_sel_hi:[0,0,0] cbsz:4 blgp:4// 000000003A2C: D3AC7000 180355AF D3AD8C04 84126980
	s_add_u32 m0, 0x1080, s64                                  // 000000003A3C: 807C40FF 00001080
	buffer_load_dwordx4 v179, s[12:15], 0 offen lds            // 000000003A44: E05D1000 800300B3
	v_mfma_scale_f32_16x16x128_f8f6f4 a[8:11], v[132:135], v[48:51], a[8:11], v175, v170 op_sel_hi:[0,0,0] cbsz:4 blgp:4// 000000003A4C: D3AC6800 180355AF D3AD8C08 84226184
	s_add_u32 s62, 0x200, s60                                  // 000000003A5C: 803E3CFF 00000200
	s_cmp_lt_u32 s62, s61                                      // 000000003A64: BF0A3D3E
	v_mfma_scale_f32_16x16x128_f8f6f4 a[12:15], v[132:135], v[52:55], a[12:15], v175, v170 op_sel_hi:[0,0,0] cbsz:4 blgp:4// 000000003A68: D3AC7800 180355AF D3AD8C0C 84326984
	s_cselect_b32 s66, s66, 0                                  // 000000003A78: 85428042
	buffer_load_dwordx4 v[72:75], v184, s[16:19], 0 offen      // 000000003A7C: E05C1000 800448B8
	s_waitcnt lgkmcnt(0)                                       // 000000003A84: BF8CC07F
	v_mfma_scale_f32_16x16x128_f8f6f4 a[48:51], v[120:123], v[56:59], a[48:51], v175, v171 op_sel_hi:[0,0,0] cbsz:4 blgp:4// 000000003A88: D3AC6000 000357AF D3AD8C30 84C27178
	s_cselect_b32 s68, s68, 0                                  // 000000003A98: 85448044
	s_add_u32 s12, s12, s66                                    // 000000003A9C: 800C420C
	v_mfma_scale_f32_16x16x128_f8f6f4 a[52:55], v[120:123], v[60:63], a[52:55], v175, v171 op_sel_hi:[0,0,0] cbsz:4 blgp:4// 000000003AA0: D3AC7000 000357AF D3AD8C34 84D27978
	s_addc_u32 s13, 0, s13                                     // 000000003AB0: 820D0D80
	buffer_load_dwordx4 v[76:79], v185, s[16:19], 0 offen      // 000000003AB4: E05C1000 80044CB9
	v_mfma_scale_f32_16x16x128_f8f6f4 a[56:59], v[124:127], v[56:59], a[56:59], v175, v171 op_sel_hi:[0,0,0] cbsz:4 blgp:4// 000000003ABC: D3AC6800 000357AF D3AD8C38 84E2717C
	s_sub_u32 s14, s14, s66                                    // 000000003ACC: 808E420E
	s_add_u32 s20, s20, s68                                    // 000000003AD0: 80144414
	v_mfma_scale_f32_16x16x128_f8f6f4 a[60:63], v[124:127], v[60:63], a[60:63], v175, v171 op_sel_hi:[0,0,0] cbsz:4 blgp:4// 000000003AD4: D3AC7800 000357AF D3AD8C3C 84F2797C
	s_addc_u32 s21, 0, s21                                     // 000000003AE4: 82151580
	buffer_load_dwordx4 v[80:83], v184, s[16:19], 0 offen offset:1024// 000000003AE8: E05C1400 800450B8
	v_mfma_scale_f32_16x16x128_f8f6f4 a[48:51], v[128:131], v[64:67], a[48:51], v175, v171 op_sel_hi:[0,0,0] cbsz:4 blgp:4// 000000003AF0: D3AC6000 180357AF D3AD8C30 84C28180
	s_sub_u32 s22, s22, s68                                    // 000000003B00: 80964416
	v_mfma_scale_f32_16x16x128_f8f6f4 a[52:55], v[128:131], v[68:71], a[52:55], v175, v171 op_sel_hi:[0,0,0] cbsz:4 blgp:4// 000000003B04: D3AC7000 180357AF D3AD8C34 84D28980
	buffer_load_dwordx4 v[84:87], v185, s[16:19], 0 offen offset:1024// 000000003B14: E05C1400 800454B9
	v_mfma_scale_f32_16x16x128_f8f6f4 a[56:59], v[132:135], v[64:67], a[56:59], v175, v171 op_sel_hi:[0,0,0] cbsz:4 blgp:4// 000000003B1C: D3AC6800 180357AF D3AD8C38 84E28184
	v_mfma_scale_f32_16x16x128_f8f6f4 a[60:63], v[132:135], v[68:71], a[60:63], v175, v171 op_sel_hi:[0,0,0] cbsz:4 blgp:4// 000000003B2C: D3AC7800 180357AF D3AD8C3C 84F28984
	buffer_load_dword v172, v190, s[24:27], 0 offen            // 000000003B3C: E0501000 8006ACBE
	s_waitcnt vmcnt(13)                                        // 000000003B44: BF8C0F7D
	v_mfma_scale_f32_16x16x128_f8f6f4 a[16:19], v[136:139], v[40:43], a[16:19], v176, v170 op_sel_hi:[0,0,0] cbsz:4 blgp:4// 000000003B48: D3AC6000 000355B0 D3AD8C10 84425188
	v_mfma_scale_f32_16x16x128_f8f6f4 a[20:23], v[136:139], v[44:47], a[20:23], v176, v170 op_sel_hi:[0,0,0] cbsz:4 blgp:4// 000000003B58: D3AC7000 000355B0 D3AD8C14 84525988
	buffer_load_dwordx4 v[88:91], v186, s[16:19], 0 offen      // 000000003B68: E05C1000 800458BA
	v_mfma_scale_f32_16x16x128_f8f6f4 a[24:27], v[140:143], v[40:43], a[24:27], v176, v170 op_sel_hi:[0,0,0] cbsz:4 blgp:4// 000000003B70: D3AC2800 000355B0 D3AD8C18 8462518C
	v_mfma_scale_f32_16x16x128_f8f6f4 a[28:31], v[140:143], v[44:47], a[28:31], v176, v170 op_sel_hi:[0,0,0] cbsz:4 blgp:4// 000000003B80: D3AC7800 000355B0 D3AD8C1C 8472598C
	buffer_load_dwordx4 v[92:95], v187, s[16:19], 0 offen      // 000000003B90: E05C1000 80045CBB
	v_mfma_scale_f32_16x16x128_f8f6f4 a[16:19], v[144:147], v[48:51], a[16:19], v176, v170 op_sel_hi:[0,0,0] cbsz:4 blgp:4// 000000003B98: D3AC6000 180355B0 D3AD8C10 84426190
	v_mfma_scale_f32_16x16x128_f8f6f4 a[20:23], v[144:147], v[52:55], a[20:23], v176, v170 op_sel_hi:[0,0,0] cbsz:4 blgp:4// 000000003BA8: D3AC7000 180355B0 D3AD8C14 84526990
	buffer_load_dwordx4 v[96:99], v186, s[16:19], 0 offen offset:1024// 000000003BB8: E05C1400 800460BA
	v_mfma_scale_f32_16x16x128_f8f6f4 a[24:27], v[148:151], v[48:51], a[24:27], v176, v170 op_sel_hi:[0,0,0] cbsz:4 blgp:4// 000000003BC0: D3AC6800 180355B0 D3AD8C18 84626194
	v_mfma_scale_f32_16x16x128_f8f6f4 a[28:31], v[148:151], v[52:55], a[28:31], v176, v170 op_sel_hi:[0,0,0] cbsz:4 blgp:4// 000000003BD0: D3AC3800 180355B0 D3AD8C1C 84726994
	buffer_load_dwordx4 v[100:103], v187, s[16:19], 0 offen offset:1024// 000000003BE0: E05C1400 800464BB
	v_mfma_scale_f32_16x16x128_f8f6f4 a[64:67], v[136:139], v[56:59], a[64:67], v176, v171 op_sel_hi:[0,0,0] cbsz:4 blgp:4// 000000003BE8: D3AC6000 000357B0 D3AD8C40 85027188
	v_mfma_scale_f32_16x16x128_f8f6f4 a[68:71], v[136:139], v[60:63], a[68:71], v176, v171 op_sel_hi:[0,0,0] cbsz:4 blgp:4// 000000003BF8: D3AC7000 000357B0 D3AD8C44 85127988
	buffer_load_dword v173, v191, s[24:27], 0 offen            // 000000003C08: E0501000 8006ADBF
	v_mfma_scale_f32_16x16x128_f8f6f4 a[72:75], v[140:143], v[56:59], a[72:75], v176, v171 op_sel_hi:[0,0,0] cbsz:4 blgp:4// 000000003C10: D3AC6800 000357B0 D3AD8C48 8522718C
	v_mfma_scale_f32_16x16x128_f8f6f4 a[76:79], v[140:143], v[60:63], a[76:79], v176, v171 op_sel_hi:[0,0,0] cbsz:4 blgp:4// 000000003C20: D3AC7800 000357B0 D3AD8C4C 8532798C
	v_mfma_scale_f32_16x16x128_f8f6f4 a[64:67], v[144:147], v[64:67], a[64:67], v176, v171 op_sel_hi:[0,0,0] cbsz:4 blgp:4// 000000003C30: D3AC6000 180357B0 D3AD8C40 85028190
	v_mfma_scale_f32_16x16x128_f8f6f4 a[68:71], v[144:147], v[68:71], a[68:71], v176, v171 op_sel_hi:[0,0,0] cbsz:4 blgp:4// 000000003C40: D3AC5000 180357B0 D3AD8C44 85128990
	v_mfma_scale_f32_16x16x128_f8f6f4 a[72:75], v[148:151], v[64:67], a[72:75], v176, v171 op_sel_hi:[0,0,0] cbsz:4 blgp:4// 000000003C50: D3AC4800 180357B0 D3AD8C48 85228194
	v_mfma_scale_f32_16x16x128_f8f6f4 a[76:79], v[148:151], v[68:71], a[76:79], v176, v171 op_sel_hi:[0,0,0] cbsz:4 blgp:4// 000000003C60: D3AC5800 180357B0 D3AD8C4C 85328994
	s_waitcnt vmcnt(10)                                        // 000000003C70: BF8C0F7A
	s_barrier                                                  // 000000003C74: BF8A0000
	v_mfma_scale_f32_16x16x128_f8f6f4 a[32:35], v[152:155], v[40:43], a[32:35], v177, v170 op_sel_hi:[0,0,0] cbsz:4 blgp:4// 000000003C78: D3AC6000 000355B1 D3AD8C20 84825198
	s_add_u32 s63, 0x200, s60                                  // 000000003C88: 803F3CFF 00000200
	ds_read_b128 v[8:11], v180                                 // 000000003C90: D9FE0000 080000B4
	v_mfma_scale_f32_16x16x128_f8f6f4 a[36:39], v[152:155], v[44:47], a[36:39], v177, v170 op_sel_hi:[0,0,0] cbsz:4 blgp:4// 000000003C98: D3AC7000 000355B1 D3AD8C24 84925998
	s_cmp_lt_u32 s63, s61                                      // 000000003CA8: BF0A3D3F
	buffer_load_dwordx4 v[104:107], v188, s[16:19], 0 offen    // 000000003CAC: E05C1000 800468BC
	v_mfma_scale_f32_16x16x128_f8f6f4 a[40:43], v[156:159], v[40:43], a[40:43], v177, v170 op_sel_hi:[0,0,0] cbsz:4 blgp:4// 000000003CB4: D3AC6800 000355B1 D3AD8C28 84A2519C
	s_cselect_b32 s67, s67, 0                                  // 000000003CC4: 85438043
	ds_read_b128 v[16:19], v180 offset:64                      // 000000003CC8: D9FE0040 100000B4
	v_mfma_scale_f32_16x16x128_f8f6f4 a[44:47], v[156:159], v[44:47], a[44:47], v177, v170 op_sel_hi:[0,0,0] cbsz:4 blgp:4// 000000003CD0: D3AC7800 000355B1 D3AD8C2C 84B2599C
	s_cselect_b32 s69, s69, 0                                  // 000000003CE0: 85458045
	buffer_load_dwordx4 v[108:111], v189, s[16:19], 0 offen    // 000000003CE4: E05C1000 80046CBD
	v_mfma_scale_f32_16x16x128_f8f6f4 a[32:35], v[160:163], v[48:51], a[32:35], v177, v170 op_sel_hi:[0,0,0] cbsz:4 blgp:4// 000000003CEC: D3AC6000 180355B1 D3AD8C20 848261A0
	ds_read_b128 v[12:15], v180 offset:512                     // 000000003CFC: D9FE0200 0C0000B4
	v_mfma_scale_f32_16x16x128_f8f6f4 a[36:39], v[160:163], v[52:55], a[36:39], v177, v170 op_sel_hi:[0,0,0] cbsz:4 blgp:4// 000000003D04: D3AC7000 180355B1 D3AD8C24 849269A0
	buffer_load_dwordx4 v[112:115], v188, s[16:19], 0 offen offset:1024// 000000003D14: E05C1400 800470BC
	v_mfma_scale_f32_16x16x128_f8f6f4 a[40:43], v[164:167], v[48:51], a[40:43], v177, v170 op_sel_hi:[0,0,0] cbsz:4 blgp:4// 000000003D1C: D3AC4800 180355B1 D3AD8C28 84A261A4
	ds_read_b128 v[20:23], v180 offset:576                     // 000000003D2C: D9FE0240 140000B4
	v_mfma_scale_f32_16x16x128_f8f6f4 a[44:47], v[164:167], v[52:55], a[44:47], v177, v170 op_sel_hi:[0,0,0] cbsz:4 blgp:4// 000000003D34: D3AC7800 180355B1 D3AD8C2C 84B269A4
	buffer_load_dwordx4 v[116:119], v189, s[16:19], 0 offen offset:1024// 000000003D44: E05C1400 800474BD
	ds_read_b32 v168, v183                                     // 000000003D4C: D86C0000 A80000B7
	v_mfma_scale_f32_16x16x128_f8f6f4 a[80:83], v[152:155], v[56:59], a[80:83], v177, v171 op_sel_hi:[0,0,0] cbsz:4 blgp:4// 000000003D54: D3AC6000 000357B1 D3AD8C50 85427198
	ds_read_b128 v[24:27], v180 offset:4224                    // 000000003D64: D9FE1080 180000B4
	v_mfma_scale_f32_16x16x128_f8f6f4 a[84:87], v[152:155], v[60:63], a[84:87], v177, v171 op_sel_hi:[0,0,0] cbsz:4 blgp:4// 000000003D6C: D3AC7000 000357B1 D3AD8C54 85527998
	buffer_load_dword v174, v192, s[24:27], 0 offen            // 000000003D7C: E0501000 8006AEC0
	v_mfma_scale_f32_16x16x128_f8f6f4 a[88:91], v[156:159], v[56:59], a[88:91], v177, v171 op_sel_hi:[0,0,0] cbsz:4 blgp:4// 000000003D84: D3AC6800 000357B1 D3AD8C58 8562719C
	s_add_u32 s16, s16, s67                                    // 000000003D94: 80104310
	ds_read_b128 v[32:35], v180 offset:4288                    // 000000003D98: D9FE10C0 200000B4
	v_mfma_scale_f32_16x16x128_f8f6f4 a[92:95], v[156:159], v[60:63], a[92:95], v177, v171 op_sel_hi:[0,0,0] cbsz:4 blgp:4// 000000003DA0: D3AC7800 000357B1 D3AD8C5C 8572799C
	s_addc_u32 s17, 0, s17                                     // 000000003DB0: 82111180
	s_sub_u32 s18, s18, s67                                    // 000000003DB4: 80924312
	v_mfma_scale_f32_16x16x128_f8f6f4 a[80:83], v[160:163], v[64:67], a[80:83], v177, v171 op_sel_hi:[0,0,0] cbsz:4 blgp:4// 000000003DB8: D3AC6000 180357B1 D3AD8C50 854281A0
	s_add_u32 s24, s24, s69                                    // 000000003DC8: 80184518
	ds_read_b128 v[28:31], v180 offset:4736                    // 000000003DCC: D9FE1280 1C0000B4
	v_mfma_scale_f32_16x16x128_f8f6f4 a[84:87], v[160:163], v[68:71], a[84:87], v177, v171 op_sel_hi:[0,0,0] cbsz:4 blgp:4// 000000003DD4: D3AC7000 180357B1 D3AD8C54 855289A0
	s_addc_u32 s25, 0, s25                                     // 000000003DE4: 82191980
	s_sub_u32 s26, s26, s69                                    // 000000003DE8: 809A451A
	v_mfma_scale_f32_16x16x128_f8f6f4 a[88:91], v[164:167], v[64:67], a[88:91], v177, v171 op_sel_hi:[0,0,0] cbsz:4 blgp:4// 000000003DEC: D3AC6800 180357B1 D3AD8C58 856281A4
	s_addk_i32 s60, 0x100                                      // 000000003DFC: B73C0100
	ds_read_b128 v[36:39], v180 offset:4800                    // 000000003E00: D9FE12C0 240000B4
	v_mfma_scale_f32_16x16x128_f8f6f4 a[92:95], v[164:167], v[68:71], a[92:95], v177, v171 op_sel_hi:[0,0,0] cbsz:4 blgp:4// 000000003E08: D3AC7800 180357B1 D3AD8C5C 857289A4
	s_cmp_lt_i32 s60, s61                                      // 000000003E18: BF043D3C
	ds_read_b32 v169, v183 offset:256                          // 000000003E1C: D86C0100 A90000B7
	s_cbranch_scc0 label_06C2                                  // 000000003E24: BF840238
	s_branch label_0254                                        // 000000003E28: BF82FDC9

0000000000003e2c <label_048B>:
	s_waitcnt vmcnt(10) lgkmcnt(5)                             // 000000003E2C: BF8C057A
	v_mfma_scale_f32_16x16x128_f8f6f4 a[0:3], v[72:75], v[8:11], a[0:3], v172, v168 op_sel_hi:[0,0,0] cbsz:4 blgp:4// 000000003E30: D3AC6000 000351AC D3AD8C00 84021148
	s_add_u32 m0, 0x400, s65                                   // 000000003E40: 807C41FF 00000400
	buffer_load_dword v182, s[20:23], 0 offen lds              // 000000003E48: E0511000 800500B6
	v_mfma_scale_f32_16x16x128_f8f6f4 a[4:7], v[72:75], v[12:15], a[4:7], v172, v168 op_sel_hi:[0,0,0] cbsz:4 blgp:4// 000000003E50: D3AC7000 000351AC D3AD8C04 84121948
	v_mfma_scale_f32_16x16x128_f8f6f4 a[8:11], v[76:79], v[8:11], a[8:11], v172, v168 op_sel_hi:[0,0,0] cbsz:4 blgp:4// 000000003E60: D3AC6800 000351AC D3AD8C08 8422114C
	s_add_u32 m0, 0x2100, s64                                  // 000000003E70: 807C40FF 00002100
	buffer_load_dwordx4 v178, s[12:15], 0 offen lds            // 000000003E78: E05D1000 800300B2
	v_mfma_scale_f32_16x16x128_f8f6f4 a[12:15], v[76:79], v[12:15], a[12:15], v172, v168 op_sel_hi:[0,0,0] cbsz:4 blgp:4// 000000003E80: D3AC7800 000351AC D3AD8C0C 8432194C
	v_mfma_scale_f32_16x16x128_f8f6f4 a[0:3], v[80:83], v[16:19], a[0:3], v172, v168 op_sel_hi:[0,0,0] cbsz:4 blgp:4// 000000003E90: D3AC6000 180351AC D3AD8C00 84022150
	s_add_u32 m0, 0x3180, s64                                  // 000000003EA0: 807C40FF 00003180
	buffer_load_dwordx4 v179, s[12:15], 0 offen lds            // 000000003EA8: E05D1000 800300B3
	v_mfma_scale_f32_16x16x128_f8f6f4 a[4:7], v[80:83], v[20:23], a[4:7], v172, v168 op_sel_hi:[0,0,0] cbsz:4 blgp:4// 000000003EB0: D3AC5000 180351AC D3AD8C04 84122950
	s_add_u32 s62, 0x200, s60                                  // 000000003EC0: 803E3CFF 00000200
	s_cmp_lt_u32 s62, s61                                      // 000000003EC8: BF0A3D3E
	v_mfma_scale_f32_16x16x128_f8f6f4 a[8:11], v[84:87], v[16:19], a[8:11], v172, v168 op_sel_hi:[0,0,0] cbsz:4 blgp:4// 000000003ECC: D3AC6800 180351AC D3AD8C08 84222154
	s_cselect_b32 s66, s66, 0                                  // 000000003EDC: 85428042
	buffer_load_dwordx4 v[120:123], v184, s[16:19], 0 offen    // 000000003EE0: E05C1000 800478B8
	v_mfma_scale_f32_16x16x128_f8f6f4 a[12:15], v[84:87], v[20:23], a[12:15], v172, v168 op_sel_hi:[0,0,0] cbsz:4 blgp:4// 000000003EE8: D3AC7800 180351AC D3AD8C0C 84322954
	s_cselect_b32 s68, s68, 0                                  // 000000003EF8: 85448044
	s_add_u32 s12, s12, s66                                    // 000000003EFC: 800C420C
	s_waitcnt lgkmcnt(0)                                       // 000000003F00: BF8CC07F
	v_mfma_scale_f32_16x16x128_f8f6f4 a[48:51], v[72:75], v[24:27], a[48:51], v172, v169 op_sel_hi:[0,0,0] cbsz:4 blgp:4// 000000003F04: D3AC6000 000353AC D3AD8C30 84C23148
	s_addc_u32 s13, 0, s13                                     // 000000003F14: 820D0D80
	buffer_load_dwordx4 v[124:127], v185, s[16:19], 0 offen    // 000000003F18: E05C1000 80047CB9
	v_mfma_scale_f32_16x16x128_f8f6f4 a[52:55], v[72:75], v[28:31], a[52:55], v172, v169 op_sel_hi:[0,0,0] cbsz:4 blgp:4// 000000003F20: D3AC7000 000353AC D3AD8C34 84D23948
	s_sub_u32 s14, s14, s66                                    // 000000003F30: 808E420E
	s_add_u32 s20, s20, s68                                    // 000000003F34: 80144414
	v_mfma_scale_f32_16x16x128_f8f6f4 a[56:59], v[76:79], v[24:27], a[56:59], v172, v169 op_sel_hi:[0,0,0] cbsz:4 blgp:4// 000000003F38: D3AC6800 000353AC D3AD8C38 84E2314C
	s_addc_u32 s21, 0, s21                                     // 000000003F48: 82151580
	buffer_load_dwordx4 v[128:131], v184, s[16:19], 0 offen offset:1024// 000000003F4C: E05C1400 800480B8
	v_mfma_scale_f32_16x16x128_f8f6f4 a[60:63], v[76:79], v[28:31], a[60:63], v172, v169 op_sel_hi:[0,0,0] cbsz:4 blgp:4// 000000003F54: D3AC7800 000353AC D3AD8C3C 84F2394C
	s_sub_u32 s22, s22, s68                                    // 000000003F64: 80964416
	v_mfma_scale_f32_16x16x128_f8f6f4 a[48:51], v[80:83], v[32:35], a[48:51], v172, v169 op_sel_hi:[0,0,0] cbsz:4 blgp:4// 000000003F68: D3AC6000 180353AC D3AD8C30 84C24150
	buffer_load_dwordx4 v[132:135], v185, s[16:19], 0 offen offset:1024// 000000003F78: E05C1400 800484B9
	v_mfma_scale_f32_16x16x128_f8f6f4 a[52:55], v[80:83], v[36:39], a[52:55], v172, v169 op_sel_hi:[0,0,0] cbsz:4 blgp:4// 000000003F80: D3AC7000 180353AC D3AD8C34 84D24950
	v_mfma_scale_f32_16x16x128_f8f6f4 a[56:59], v[84:87], v[32:35], a[56:59], v172, v169 op_sel_hi:[0,0,0] cbsz:4 blgp:4// 000000003F90: D3AC6800 180353AC D3AD8C38 84E24154
	buffer_load_dword v175, v190, s[24:27], 0 offen            // 000000003FA0: E0501000 8006AFBE
	v_mfma_scale_f32_16x16x128_f8f6f4 a[60:63], v[84:87], v[36:39], a[60:63], v172, v169 op_sel_hi:[0,0,0] cbsz:4 blgp:4// 000000003FA8: D3AC7800 180353AC D3AD8C3C 84F24954
	s_waitcnt vmcnt(13)                                        // 000000003FB8: BF8C0F7D
	v_mfma_scale_f32_16x16x128_f8f6f4 a[16:19], v[88:91], v[8:11], a[16:19], v173, v168 op_sel_hi:[0,0,0] cbsz:4 blgp:4// 000000003FBC: D3AC6000 000351AD D3AD8C10 84421158
	buffer_load_dwordx4 v[136:139], v186, s[16:19], 0 offen    // 000000003FCC: E05C1000 800488BA
	v_mfma_scale_f32_16x16x128_f8f6f4 a[20:23], v[88:91], v[12:15], a[20:23], v173, v168 op_sel_hi:[0,0,0] cbsz:4 blgp:4// 000000003FD4: D3AC7000 000351AD D3AD8C14 84521958
	v_mfma_scale_f32_16x16x128_f8f6f4 a[24:27], v[92:95], v[8:11], a[24:27], v173, v168 op_sel_hi:[0,0,0] cbsz:4 blgp:4// 000000003FE4: D3AC6800 000351AD D3AD8C18 8462115C
	buffer_load_dwordx4 v[140:143], v187, s[16:19], 0 offen    // 000000003FF4: E05C1000 80048CBB
	v_mfma_scale_f32_16x16x128_f8f6f4 a[28:31], v[92:95], v[12:15], a[28:31], v173, v168 op_sel_hi:[0,0,0] cbsz:4 blgp:4// 000000003FFC: D3AC7800 000351AD D3AD8C1C 8472195C
	v_mfma_scale_f32_16x16x128_f8f6f4 a[16:19], v[96:99], v[16:19], a[16:19], v173, v168 op_sel_hi:[0,0,0] cbsz:4 blgp:4// 00000000400C: D3AC6000 180351AD D3AD8C10 84422160
	buffer_load_dwordx4 v[144:147], v186, s[16:19], 0 offen offset:1024// 00000000401C: E05C1400 800490BA
	v_mfma_scale_f32_16x16x128_f8f6f4 a[20:23], v[96:99], v[20:23], a[20:23], v173, v168 op_sel_hi:[0,0,0] cbsz:4 blgp:4// 000000004024: D3AC7000 180351AD D3AD8C14 84522960
	v_mfma_scale_f32_16x16x128_f8f6f4 a[24:27], v[100:103], v[16:19], a[24:27], v173, v168 op_sel_hi:[0,0,0] cbsz:4 blgp:4// 000000004034: D3AC6800 180351AD D3AD8C18 84622164
	buffer_load_dwordx4 v[148:151], v187, s[16:19], 0 offen offset:1024// 000000004044: E05C1400 800494BB
	v_mfma_scale_f32_16x16x128_f8f6f4 a[28:31], v[100:103], v[20:23], a[28:31], v173, v168 op_sel_hi:[0,0,0] cbsz:4 blgp:4// 00000000404C: D3AC7800 180351AD D3AD8C1C 84722964
	v_mfma_scale_f32_16x16x128_f8f6f4 a[64:67], v[88:91], v[24:27], a[64:67], v173, v169 op_sel_hi:[0,0,0] cbsz:4 blgp:4// 00000000405C: D3AC6000 000353AD D3AD8C40 85023158
	buffer_load_dword v176, v191, s[24:27], 0 offen            // 00000000406C: E0501000 8006B0BF
	v_mfma_scale_f32_16x16x128_f8f6f4 a[68:71], v[88:91], v[28:31], a[68:71], v173, v169 op_sel_hi:[0,0,0] cbsz:4 blgp:4// 000000004074: D3AC7000 000353AD D3AD8C44 85123958
	v_mfma_scale_f32_16x16x128_f8f6f4 a[72:75], v[92:95], v[24:27], a[72:75], v173, v169 op_sel_hi:[0,0,0] cbsz:4 blgp:4// 000000004084: D3AC6800 000353AD D3AD8C48 8522315C
	v_mfma_scale_f32_16x16x128_f8f6f4 a[76:79], v[92:95], v[28:31], a[76:79], v173, v169 op_sel_hi:[0,0,0] cbsz:4 blgp:4// 000000004094: D3AC7800 000353AD D3AD8C4C 8532395C
	v_mfma_scale_f32_16x16x128_f8f6f4 a[64:67], v[96:99], v[32:35], a[64:67], v173, v169 op_sel_hi:[0,0,0] cbsz:4 blgp:4// 0000000040A4: D3AC6000 180353AD D3AD8C40 85024160
	v_mfma_scale_f32_16x16x128_f8f6f4 a[68:71], v[96:99], v[36:39], a[68:71], v173, v169 op_sel_hi:[0,0,0] cbsz:4 blgp:4// 0000000040B4: D3AC7000 180353AD D3AD8C44 85124960
	v_mfma_scale_f32_16x16x128_f8f6f4 a[72:75], v[100:103], v[32:35], a[72:75], v173, v169 op_sel_hi:[0,0,0] cbsz:4 blgp:4// 0000000040C4: D3AC6800 180353AD D3AD8C48 85224164
	v_mfma_scale_f32_16x16x128_f8f6f4 a[76:79], v[100:103], v[36:39], a[76:79], v173, v169 op_sel_hi:[0,0,0] cbsz:4 blgp:4// 0000000040D4: D3AC7800 180353AD D3AD8C4C 85324964
	s_waitcnt vmcnt(10)                                        // 0000000040E4: BF8C0F7A
	s_barrier                                                  // 0000000040E8: BF8A0000
	v_mfma_scale_f32_16x16x128_f8f6f4 a[32:35], v[104:107], v[8:11], a[32:35], v174, v168 op_sel_hi:[0,0,0] cbsz:4 blgp:4// 0000000040EC: D3AC6000 000351AE D3AD8C20 84821168
	s_add_u32 s63, 0x200, s60                                  // 0000000040FC: 803F3CFF 00000200
	buffer_load_dwordx4 v[152:155], v188, s[16:19], 0 offen    // 000000004104: E05C1000 800498BC
	v_mfma_scale_f32_16x16x128_f8f6f4 a[36:39], v[104:107], v[12:15], a[36:39], v174, v168 op_sel_hi:[0,0,0] cbsz:4 blgp:4// 00000000410C: D3AC7000 000351AE D3AD8C24 84921968
	s_cmp_lt_u32 s63, s61                                      // 00000000411C: BF0A3D3F
	ds_read_b128 v[40:43], v181                                // 000000004120: D9FE0000 280000B5
	v_mfma_scale_f32_16x16x128_f8f6f4 a[40:43], v[108:111], v[8:11], a[40:43], v174, v168 op_sel_hi:[0,0,0] cbsz:4 blgp:4// 000000004128: D3AC6800 000351AE D3AD8C28 84A2116C
	s_cselect_b32 s67, s67, 0                                  // 000000004138: 85438043
	buffer_load_dwordx4 v[156:159], v189, s[16:19], 0 offen    // 00000000413C: E05C1000 80049CBD
	v_mfma_scale_f32_16x16x128_f8f6f4 a[44:47], v[108:111], v[12:15], a[44:47], v174, v168 op_sel_hi:[0,0,0] cbsz:4 blgp:4// 000000004144: D3AC7800 000351AE D3AD8C2C 84B2196C
	s_cselect_b32 s69, s69, 0                                  // 000000004154: 85458045
	ds_read_b128 v[48:51], v181 offset:64                      // 000000004158: D9FE0040 300000B5
	v_mfma_scale_f32_16x16x128_f8f6f4 a[32:35], v[112:115], v[16:19], a[32:35], v174, v168 op_sel_hi:[0,0,0] cbsz:4 blgp:4// 000000004160: D3AC6000 180351AE D3AD8C20 84822170
	buffer_load_dwordx4 v[160:163], v188, s[16:19], 0 offen offset:1024// 000000004170: E05C1400 8004A0BC
	v_mfma_scale_f32_16x16x128_f8f6f4 a[36:39], v[112:115], v[20:23], a[36:39], v174, v168 op_sel_hi:[0,0,0] cbsz:4 blgp:4// 000000004178: D3AC7000 180351AE D3AD8C24 84922970
	ds_read_b128 v[44:47], v181 offset:512                     // 000000004188: D9FE0200 2C0000B5
	v_mfma_scale_f32_16x16x128_f8f6f4 a[40:43], v[116:119], v[16:19], a[40:43], v174, v168 op_sel_hi:[0,0,0] cbsz:4 blgp:4// 000000004190: D3AC6800 180351AE D3AD8C28 84A22174
	buffer_load_dwordx4 v[164:167], v189, s[16:19], 0 offen offset:1024// 0000000041A0: E05C1400 8004A4BD
	v_mfma_scale_f32_16x16x128_f8f6f4 a[44:47], v[116:119], v[20:23], a[44:47], v174, v168 op_sel_hi:[0,0,0] cbsz:4 blgp:4// 0000000041A8: D3AC7800 180351AE D3AD8C2C 84B22974
	ds_read_b128 v[52:55], v181 offset:576                     // 0000000041B8: D9FE0240 340000B5
	ds_read_b32 v170, v183 offset:1024                         // 0000000041C0: D86C0400 AA0000B7
	v_mfma_scale_f32_16x16x128_f8f6f4 a[80:83], v[104:107], v[24:27], a[80:83], v174, v169 op_sel_hi:[0,0,0] cbsz:4 blgp:4// 0000000041C8: D3AC6000 000353AE D3AD8C50 85423168
	buffer_load_dword v177, v192, s[24:27], 0 offen            // 0000000041D8: E0501000 8006B1C0
	v_mfma_scale_f32_16x16x128_f8f6f4 a[84:87], v[104:107], v[28:31], a[84:87], v174, v169 op_sel_hi:[0,0,0] cbsz:4 blgp:4// 0000000041E0: D3AC7000 000353AE D3AD8C54 85523968
	s_add_u32 s16, s16, s67                                    // 0000000041F0: 80104310
	ds_read_b128 v[56:59], v181 offset:4224                    // 0000000041F4: D9FE1080 380000B5
	v_mfma_scale_f32_16x16x128_f8f6f4 a[88:91], v[108:111], v[24:27], a[88:91], v174, v169 op_sel_hi:[0,0,0] cbsz:4 blgp:4// 0000000041FC: D3AC6800 000353AE D3AD8C58 8562316C
	s_addc_u32 s17, 0, s17                                     // 00000000420C: 82111180
	s_sub_u32 s18, s18, s67                                    // 000000004210: 80924312
	v_mfma_scale_f32_16x16x128_f8f6f4 a[92:95], v[108:111], v[28:31], a[92:95], v174, v169 op_sel_hi:[0,0,0] cbsz:4 blgp:4// 000000004214: D3AC7800 000353AE D3AD8C5C 8572396C
	s_add_u32 s24, s24, s69                                    // 000000004224: 80184518
	ds_read_b128 v[64:67], v181 offset:4288                    // 000000004228: D9FE10C0 400000B5
	v_mfma_scale_f32_16x16x128_f8f6f4 a[80:83], v[112:115], v[32:35], a[80:83], v174, v169 op_sel_hi:[0,0,0] cbsz:4 blgp:4// 000000004230: D3AC6000 180353AE D3AD8C50 85424170
	s_addc_u32 s25, 0, s25                                     // 000000004240: 82191980
	s_sub_u32 s26, s26, s69                                    // 000000004244: 809A451A
	v_mfma_scale_f32_16x16x128_f8f6f4 a[84:87], v[112:115], v[36:39], a[84:87], v174, v169 op_sel_hi:[0,0,0] cbsz:4 blgp:4// 000000004248: D3AC7000 180353AE D3AD8C54 85524970
	s_addk_i32 s60, 0x100                                      // 000000004258: B73C0100
	ds_read_b128 v[60:63], v181 offset:4736                    // 00000000425C: D9FE1280 3C0000B5
	v_mfma_scale_f32_16x16x128_f8f6f4 a[88:91], v[116:119], v[32:35], a[88:91], v174, v169 op_sel_hi:[0,0,0] cbsz:4 blgp:4// 000000004264: D3AC6800 180353AE D3AD8C58 85624174
	s_cmp_lt_i32 s60, s61                                      // 000000004274: BF043D3C
	v_mfma_scale_f32_16x16x128_f8f6f4 a[92:95], v[116:119], v[36:39], a[92:95], v174, v169 op_sel_hi:[0,0,0] cbsz:4 blgp:4// 000000004278: D3AC7800 180353AE D3AD8C5C 85724974
	ds_read_b128 v[68:71], v181 offset:4800                    // 000000004288: D9FE12C0 440000B5
	ds_read_b32 v171, v183 offset:1280                         // 000000004290: D86C0500 AB0000B7
	s_cbranch_scc0 label_06C2                                  // 000000004298: BF84011B
	s_waitcnt vmcnt(10) lgkmcnt(5)                             // 00000000429C: BF8C057A
	v_mfma_scale_f32_16x16x128_f8f6f4 a[0:3], v[120:123], v[40:43], a[0:3], v175, v170 op_sel_hi:[0,0,0] cbsz:4 blgp:4// 0000000042A0: D3AC6000 000355AF D3AD8C00 84025178
	s_add_u32 m0, 0, s65                                       // 0000000042B0: 807C4180
	buffer_load_dword v182, s[20:23], 0 offen lds              // 0000000042B4: E0511000 800500B6
	v_mfma_scale_f32_16x16x128_f8f6f4 a[4:7], v[120:123], v[44:47], a[4:7], v175, v170 op_sel_hi:[0,0,0] cbsz:4 blgp:4// 0000000042BC: D3AC7000 000355AF D3AD8C04 84125978
	v_mfma_scale_f32_16x16x128_f8f6f4 a[8:11], v[124:127], v[40:43], a[8:11], v175, v170 op_sel_hi:[0,0,0] cbsz:4 blgp:4// 0000000042CC: D3AC6800 000355AF D3AD8C08 8422517C
	s_add_u32 m0, 0, s64                                       // 0000000042DC: 807C4080
	buffer_load_dwordx4 v178, s[12:15], 0 offen lds            // 0000000042E0: E05D1000 800300B2
	v_mfma_scale_f32_16x16x128_f8f6f4 a[12:15], v[124:127], v[44:47], a[12:15], v175, v170 op_sel_hi:[0,0,0] cbsz:4 blgp:4// 0000000042E8: D3AC7800 000355AF D3AD8C0C 8432597C
	v_mfma_scale_f32_16x16x128_f8f6f4 a[0:3], v[128:131], v[48:51], a[0:3], v175, v170 op_sel_hi:[0,0,0] cbsz:4 blgp:4// 0000000042F8: D3AC6000 180355AF D3AD8C00 84026180
	s_add_u32 m0, 0x1080, s64                                  // 000000004308: 807C40FF 00001080
	buffer_load_dwordx4 v179, s[12:15], 0 offen lds            // 000000004310: E05D1000 800300B3
	v_mfma_scale_f32_16x16x128_f8f6f4 a[4:7], v[128:131], v[52:55], a[4:7], v175, v170 op_sel_hi:[0,0,0] cbsz:4 blgp:4// 000000004318: D3AC7000 180355AF D3AD8C04 84126980
	s_add_u32 s62, 0x200, s60                                  // 000000004328: 803E3CFF 00000200
	s_cmp_lt_u32 s62, s61                                      // 000000004330: BF0A3D3E
	v_mfma_scale_f32_16x16x128_f8f6f4 a[8:11], v[132:135], v[48:51], a[8:11], v175, v170 op_sel_hi:[0,0,0] cbsz:4 blgp:4// 000000004334: D3AC6800 180355AF D3AD8C08 84226184
	s_cselect_b32 s66, s66, 0                                  // 000000004344: 85428042
	buffer_load_dwordx4 v[72:75], v184, s[16:19], 0 offen      // 000000004348: E05C1000 800448B8
	v_mfma_scale_f32_16x16x128_f8f6f4 a[12:15], v[132:135], v[52:55], a[12:15], v175, v170 op_sel_hi:[0,0,0] cbsz:4 blgp:4// 000000004350: D3AC7800 180355AF D3AD8C0C 84326984
	s_cselect_b32 s68, s68, 0                                  // 000000004360: 85448044
	s_add_u32 s12, s12, s66                                    // 000000004364: 800C420C
	s_waitcnt lgkmcnt(0)                                       // 000000004368: BF8CC07F
	v_mfma_scale_f32_16x16x128_f8f6f4 a[48:51], v[120:123], v[56:59], a[48:51], v175, v171 op_sel_hi:[0,0,0] cbsz:4 blgp:4// 00000000436C: D3AC6000 000357AF D3AD8C30 84C27178
	s_addc_u32 s13, 0, s13                                     // 00000000437C: 820D0D80
	buffer_load_dwordx4 v[76:79], v185, s[16:19], 0 offen      // 000000004380: E05C1000 80044CB9
	v_mfma_scale_f32_16x16x128_f8f6f4 a[52:55], v[120:123], v[60:63], a[52:55], v175, v171 op_sel_hi:[0,0,0] cbsz:4 blgp:4// 000000004388: D3AC7000 000357AF D3AD8C34 84D27978
	s_sub_u32 s14, s14, s66                                    // 000000004398: 808E420E
	s_add_u32 s20, s20, s68                                    // 00000000439C: 80144414
	v_mfma_scale_f32_16x16x128_f8f6f4 a[56:59], v[124:127], v[56:59], a[56:59], v175, v171 op_sel_hi:[0,0,0] cbsz:4 blgp:4// 0000000043A0: D3AC6800 000357AF D3AD8C38 84E2717C
	s_addc_u32 s21, 0, s21                                     // 0000000043B0: 82151580
	buffer_load_dwordx4 v[80:83], v184, s[16:19], 0 offen offset:1024// 0000000043B4: E05C1400 800450B8
	v_mfma_scale_f32_16x16x128_f8f6f4 a[60:63], v[124:127], v[60:63], a[60:63], v175, v171 op_sel_hi:[0,0,0] cbsz:4 blgp:4// 0000000043BC: D3AC7800 000357AF D3AD8C3C 84F2797C
	s_sub_u32 s22, s22, s68                                    // 0000000043CC: 80964416
	v_mfma_scale_f32_16x16x128_f8f6f4 a[48:51], v[128:131], v[64:67], a[48:51], v175, v171 op_sel_hi:[0,0,0] cbsz:4 blgp:4// 0000000043D0: D3AC6000 180357AF D3AD8C30 84C28180
	buffer_load_dwordx4 v[84:87], v185, s[16:19], 0 offen offset:1024// 0000000043E0: E05C1400 800454B9
	v_mfma_scale_f32_16x16x128_f8f6f4 a[52:55], v[128:131], v[68:71], a[52:55], v175, v171 op_sel_hi:[0,0,0] cbsz:4 blgp:4// 0000000043E8: D3AC7000 180357AF D3AD8C34 84D28980
	v_mfma_scale_f32_16x16x128_f8f6f4 a[56:59], v[132:135], v[64:67], a[56:59], v175, v171 op_sel_hi:[0,0,0] cbsz:4 blgp:4// 0000000043F8: D3AC6800 180357AF D3AD8C38 84E28184
	buffer_load_dword v172, v190, s[24:27], 0 offen            // 000000004408: E0501000 8006ACBE
	v_mfma_scale_f32_16x16x128_f8f6f4 a[60:63], v[132:135], v[68:71], a[60:63], v175, v171 op_sel_hi:[0,0,0] cbsz:4 blgp:4// 000000004410: D3AC7800 180357AF D3AD8C3C 84F28984
	s_waitcnt vmcnt(13)                                        // 000000004420: BF8C0F7D
	v_mfma_scale_f32_16x16x128_f8f6f4 a[16:19], v[136:139], v[40:43], a[16:19], v176, v170 op_sel_hi:[0,0,0] cbsz:4 blgp:4// 000000004424: D3AC6000 000355B0 D3AD8C10 84425188
	buffer_load_dwordx4 v[88:91], v186, s[16:19], 0 offen      // 000000004434: E05C1000 800458BA
	v_mfma_scale_f32_16x16x128_f8f6f4 a[20:23], v[136:139], v[44:47], a[20:23], v176, v170 op_sel_hi:[0,0,0] cbsz:4 blgp:4// 00000000443C: D3AC7000 000355B0 D3AD8C14 84525988
	v_mfma_scale_f32_16x16x128_f8f6f4 a[24:27], v[140:143], v[40:43], a[24:27], v176, v170 op_sel_hi:[0,0,0] cbsz:4 blgp:4// 00000000444C: D3AC6800 000355B0 D3AD8C18 8462518C
	buffer_load_dwordx4 v[92:95], v187, s[16:19], 0 offen      // 00000000445C: E05C1000 80045CBB
	v_mfma_scale_f32_16x16x128_f8f6f4 a[28:31], v[140:143], v[44:47], a[28:31], v176, v170 op_sel_hi:[0,0,0] cbsz:4 blgp:4// 000000004464: D3AC7800 000355B0 D3AD8C1C 8472598C
	v_mfma_scale_f32_16x16x128_f8f6f4 a[16:19], v[144:147], v[48:51], a[16:19], v176, v170 op_sel_hi:[0,0,0] cbsz:4 blgp:4// 000000004474: D3AC6000 180355B0 D3AD8C10 84426190
	buffer_load_dwordx4 v[96:99], v186, s[16:19], 0 offen offset:1024// 000000004484: E05C1400 800460BA
	v_mfma_scale_f32_16x16x128_f8f6f4 a[20:23], v[144:147], v[52:55], a[20:23], v176, v170 op_sel_hi:[0,0,0] cbsz:4 blgp:4// 00000000448C: D3AC7000 180355B0 D3AD8C14 84526990
	v_mfma_scale_f32_16x16x128_f8f6f4 a[24:27], v[148:151], v[48:51], a[24:27], v176, v170 op_sel_hi:[0,0,0] cbsz:4 blgp:4// 00000000449C: D3AC6800 180355B0 D3AD8C18 84626194
	buffer_load_dwordx4 v[100:103], v187, s[16:19], 0 offen offset:1024// 0000000044AC: E05C1400 800464BB
	v_mfma_scale_f32_16x16x128_f8f6f4 a[28:31], v[148:151], v[52:55], a[28:31], v176, v170 op_sel_hi:[0,0,0] cbsz:4 blgp:4// 0000000044B4: D3AC7800 180355B0 D3AD8C1C 84726994
	v_mfma_scale_f32_16x16x128_f8f6f4 a[64:67], v[136:139], v[56:59], a[64:67], v176, v171 op_sel_hi:[0,0,0] cbsz:4 blgp:4// 0000000044C4: D3AC6000 000357B0 D3AD8C40 85027188
	buffer_load_dword v173, v191, s[24:27], 0 offen            // 0000000044D4: E0501000 8006ADBF
	v_mfma_scale_f32_16x16x128_f8f6f4 a[68:71], v[136:139], v[60:63], a[68:71], v176, v171 op_sel_hi:[0,0,0] cbsz:4 blgp:4// 0000000044DC: D3AC7000 000357B0 D3AD8C44 85127988
	v_mfma_scale_f32_16x16x128_f8f6f4 a[72:75], v[140:143], v[56:59], a[72:75], v176, v171 op_sel_hi:[0,0,0] cbsz:4 blgp:4// 0000000044EC: D3AC6800 000357B0 D3AD8C48 8522718C
	v_mfma_scale_f32_16x16x128_f8f6f4 a[76:79], v[140:143], v[60:63], a[76:79], v176, v171 op_sel_hi:[0,0,0] cbsz:4 blgp:4// 0000000044FC: D3AC7800 000357B0 D3AD8C4C 8532798C
	v_mfma_scale_f32_16x16x128_f8f6f4 a[64:67], v[144:147], v[64:67], a[64:67], v176, v171 op_sel_hi:[0,0,0] cbsz:4 blgp:4// 00000000450C: D3AC6000 180357B0 D3AD8C40 85028190
	v_mfma_scale_f32_16x16x128_f8f6f4 a[68:71], v[144:147], v[68:71], a[68:71], v176, v171 op_sel_hi:[0,0,0] cbsz:4 blgp:4// 00000000451C: D3AC7000 180357B0 D3AD8C44 85128990
	v_mfma_scale_f32_16x16x128_f8f6f4 a[72:75], v[148:151], v[64:67], a[72:75], v176, v171 op_sel_hi:[0,0,0] cbsz:4 blgp:4// 00000000452C: D3AC6800 180357B0 D3AD8C48 85228194
	v_mfma_scale_f32_16x16x128_f8f6f4 a[76:79], v[148:151], v[68:71], a[76:79], v176, v171 op_sel_hi:[0,0,0] cbsz:4 blgp:4// 00000000453C: D3AC7800 180357B0 D3AD8C4C 85328994
	s_waitcnt vmcnt(10)                                        // 00000000454C: BF8C0F7A
	s_barrier                                                  // 000000004550: BF8A0000
	v_mfma_scale_f32_16x16x128_f8f6f4 a[32:35], v[152:155], v[40:43], a[32:35], v177, v170 op_sel_hi:[0,0,0] cbsz:4 blgp:4// 000000004554: D3AC6000 000355B1 D3AD8C20 84825198
	s_add_u32 s63, 0x200, s60                                  // 000000004564: 803F3CFF 00000200
	buffer_load_dwordx4 v[104:107], v188, s[16:19], 0 offen    // 00000000456C: E05C1000 800468BC
	v_mfma_scale_f32_16x16x128_f8f6f4 a[36:39], v[152:155], v[44:47], a[36:39], v177, v170 op_sel_hi:[0,0,0] cbsz:4 blgp:4// 000000004574: D3AC7000 000355B1 D3AD8C24 84925998
	s_cmp_lt_u32 s63, s61                                      // 000000004584: BF0A3D3F
	ds_read_b128 v[8:11], v180                                 // 000000004588: D9FE0000 080000B4
	v_mfma_scale_f32_16x16x128_f8f6f4 a[40:43], v[156:159], v[40:43], a[40:43], v177, v170 op_sel_hi:[0,0,0] cbsz:4 blgp:4// 000000004590: D3AC6800 000355B1 D3AD8C28 84A2519C
	s_cselect_b32 s67, s67, 0                                  // 0000000045A0: 85438043
	buffer_load_dwordx4 v[108:111], v189, s[16:19], 0 offen    // 0000000045A4: E05C1000 80046CBD
	v_mfma_scale_f32_16x16x128_f8f6f4 a[44:47], v[156:159], v[44:47], a[44:47], v177, v170 op_sel_hi:[0,0,0] cbsz:4 blgp:4// 0000000045AC: D3AC7800 000355B1 D3AD8C2C 84B2599C
	s_cselect_b32 s69, s69, 0                                  // 0000000045BC: 85458045
	ds_read_b128 v[16:19], v180 offset:64                      // 0000000045C0: D9FE0040 100000B4
	v_mfma_scale_f32_16x16x128_f8f6f4 a[32:35], v[160:163], v[48:51], a[32:35], v177, v170 op_sel_hi:[0,0,0] cbsz:4 blgp:4// 0000000045C8: D3AC0000 180355B1 D3AD8C20 848261A0
	buffer_load_dwordx4 v[112:115], v188, s[16:19], 0 offen offset:1024// 0000000045D8: E05C1400 800470BC
	v_mfma_scale_f32_16x16x128_f8f6f4 a[36:39], v[160:163], v[52:55], a[36:39], v177, v170 op_sel_hi:[0,0,0] cbsz:4 blgp:4// 0000000045E0: D3AC1000 180355B1 D3AD8C24 849269A0
	ds_read_b128 v[12:15], v180 offset:512                     // 0000000045F0: D9FE0200 0C0000B4
	v_mfma_scale_f32_16x16x128_f8f6f4 a[40:43], v[164:167], v[48:51], a[40:43], v177, v170 op_sel_hi:[0,0,0] cbsz:4 blgp:4// 0000000045F8: D3AC6800 180355B1 D3AD8C28 84A261A4
	buffer_load_dwordx4 v[116:119], v189, s[16:19], 0 offen offset:1024// 000000004608: E05C1400 800474BD
	v_mfma_scale_f32_16x16x128_f8f6f4 a[44:47], v[164:167], v[52:55], a[44:47], v177, v170 op_sel_hi:[0,0,0] cbsz:4 blgp:4// 000000004610: D3AC7800 180355B1 D3AD8C2C 84B269A4
	ds_read_b128 v[20:23], v180 offset:576                     // 000000004620: D9FE0240 140000B4
	ds_read_b32 v168, v183                                     // 000000004628: D86C0000 A80000B7
	v_mfma_scale_f32_16x16x128_f8f6f4 a[80:83], v[152:155], v[56:59], a[80:83], v177, v171 op_sel_hi:[0,0,0] cbsz:4 blgp:4// 000000004630: D3AC6000 000357B1 D3AD8C50 85427198
	buffer_load_dword v174, v192, s[24:27], 0 offen            // 000000004640: E0501000 8006AEC0
	v_mfma_scale_f32_16x16x128_f8f6f4 a[84:87], v[152:155], v[60:63], a[84:87], v177, v171 op_sel_hi:[0,0,0] cbsz:4 blgp:4// 000000004648: D3AC7000 000357B1 D3AD8C54 85527998
	s_add_u32 s16, s16, s67                                    // 000000004658: 80104310
	ds_read_b128 v[24:27], v180 offset:4224                    // 00000000465C: D9FE1080 180000B4
	v_mfma_scale_f32_16x16x128_f8f6f4 a[88:91], v[156:159], v[56:59], a[88:91], v177, v171 op_sel_hi:[0,0,0] cbsz:4 blgp:4// 000000004664: D3AC6800 000357B1 D3AD8C58 8562719C
	s_addc_u32 s17, 0, s17                                     // 000000004674: 82111180
	s_sub_u32 s18, s18, s67                                    // 000000004678: 80924312
	v_mfma_scale_f32_16x16x128_f8f6f4 a[92:95], v[156:159], v[60:63], a[92:95], v177, v171 op_sel_hi:[0,0,0] cbsz:4 blgp:4// 00000000467C: D3AC7800 000357B1 D3AD8C5C 8572799C
	s_add_u32 s24, s24, s69                                    // 00000000468C: 80184518
	ds_read_b128 v[32:35], v180 offset:4288                    // 000000004690: D9FE10C0 200000B4
	v_mfma_scale_f32_16x16x128_f8f6f4 a[80:83], v[160:163], v[64:67], a[80:83], v177, v171 op_sel_hi:[0,0,0] cbsz:4 blgp:4// 000000004698: D3AC6000 180357B1 D3AD8C50 854281A0
	s_addc_u32 s25, 0, s25                                     // 0000000046A8: 82191980
	s_sub_u32 s26, s26, s69                                    // 0000000046AC: 809A451A
	v_mfma_scale_f32_16x16x128_f8f6f4 a[84:87], v[160:163], v[68:71], a[84:87], v177, v171 op_sel_hi:[0,0,0] cbsz:4 blgp:4// 0000000046B0: D3AC7000 180357B1 D3AD8C54 855289A0
	s_addk_i32 s60, 0x100                                      // 0000000046C0: B73C0100
	ds_read_b128 v[28:31], v180 offset:4736                    // 0000000046C4: D9FE1280 1C0000B4
	v_mfma_scale_f32_16x16x128_f8f6f4 a[88:91], v[164:167], v[64:67], a[88:91], v177, v171 op_sel_hi:[0,0,0] cbsz:4 blgp:4// 0000000046CC: D3AC6800 180357B1 D3AD8C58 856281A4
	s_cmp_lt_i32 s60, s61                                      // 0000000046DC: BF043D3C
	v_mfma_scale_f32_16x16x128_f8f6f4 a[92:95], v[164:167], v[68:71], a[92:95], v177, v171 op_sel_hi:[0,0,0] cbsz:4 blgp:4// 0000000046E0: D3AC7800 180357B1 D3AD8C5C 857289A4
	ds_read_b128 v[36:39], v180 offset:4800                    // 0000000046F0: D9FE12C0 240000B4
	ds_read_b32 v169, v183 offset:256                          // 0000000046F8: D86C0100 A90000B7
	s_cbranch_scc0 label_06C2                                  // 000000004700: BF840001
	s_branch label_048B                                        // 000000004704: BF82FDC9

0000000000004708 <label_06C2>:
	s_waitcnt lgkmcnt(0)                                       // 000000004708: BF8CC07F
	s_mul_i32 s62, s47, 0x180                                  // 00000000470C: 923EFF2F 00000180
	s_mul_i32 s63, s46, 0x60                                   // 000000004714: 923FFF2E 00000060
	s_add_u32 s60, s62, s63                                    // 00000000471C: 803C3F3E
	s_add_u32 s62, s60, 0x60                                   // 000000004720: 803EFF3C 00000060
	s_cmp_lt_i32 s44, s62                                      // 000000004728: BF043E2C
	s_cbranch_scc1 label_0852                                  // 00000000472C: BF850186
	s_mul_i32 s62, s36, 16                                     // 000000004730: 923E9024
	v_add_u32_e32 v197, 0, v193                                // 000000004734: 698B8280
	v_accvgpr_read_b32 v8, a0                                  // 000000004738: D3D84008 18000100
	v_accvgpr_read_b32 v9, a1                                  // 000000004740: D3D84009 18000101
	v_accvgpr_read_b32 v10, a2                                 // 000000004748: D3D8400A 18000102
	v_accvgpr_read_b32 v11, a3                                 // 000000004750: D3D8400B 18000103
	v_accvgpr_read_b32 v12, a8                                 // 000000004758: D3D8400C 18000108
	v_accvgpr_read_b32 v13, a9                                 // 000000004760: D3D8400D 18000109
	v_accvgpr_read_b32 v14, a10                                // 000000004768: D3D8400E 1800010A
	v_accvgpr_read_b32 v15, a11                                // 000000004770: D3D8400F 1800010B
	v_cvt_pk_bf16_f32 v16, v8, v9                              // 000000004778: D2680010 00021308
	v_cvt_pk_bf16_f32 v17, v10, v11                            // 000000004780: D2680011 0002170A
	v_cvt_pk_bf16_f32 v18, v12, v13                            // 000000004788: D2680012 00021B0C
	v_cvt_pk_bf16_f32 v19, v14, v15                            // 000000004790: D2680013 00021F0E
	s_nop 1                                                    // 000000004798: BF800001
	v_permlane16_swap_b32_e32 v16, v18                         // 00000000479C: 7E20B312
	s_nop 1                                                    // 0000000047A0: BF800001
	v_permlane16_swap_b32_e32 v17, v19                         // 0000000047A4: 7E22B313
	s_nop 1                                                    // 0000000047A8: BF800001
	buffer_store_dwordx4 v[16:19], v197, s[4:7], 0 offen       // 0000000047AC: E07C1000 800110C5
	v_add_u32_e32 v197, s62, v197                              // 0000000047B4: 698B8A3E
	v_accvgpr_read_b32 v8, a4                                  // 0000000047B8: D3D84008 18000104
	v_accvgpr_read_b32 v9, a5                                  // 0000000047C0: D3D84009 18000105
	v_accvgpr_read_b32 v10, a6                                 // 0000000047C8: D3D8400A 18000106
	v_accvgpr_read_b32 v11, a7                                 // 0000000047D0: D3D8400B 18000107
	v_accvgpr_read_b32 v12, a12                                // 0000000047D8: D3D8400C 1800010C
	v_accvgpr_read_b32 v13, a13                                // 0000000047E0: D3D8400D 1800010D
	v_accvgpr_read_b32 v14, a14                                // 0000000047E8: D3D8400E 1800010E
	v_accvgpr_read_b32 v15, a15                                // 0000000047F0: D3D8400F 1800010F
	v_cvt_pk_bf16_f32 v16, v8, v9                              // 0000000047F8: D2680010 00021308
	v_cvt_pk_bf16_f32 v17, v10, v11                            // 000000004800: D2680011 0002170A
	v_cvt_pk_bf16_f32 v18, v12, v13                            // 000000004808: D2680012 00021B0C
	v_cvt_pk_bf16_f32 v19, v14, v15                            // 000000004810: D2680013 00021F0E
	s_nop 1                                                    // 000000004818: BF800001
	v_permlane16_swap_b32_e32 v16, v18                         // 00000000481C: 7E20B312
	s_nop 1                                                    // 000000004820: BF800001
	v_permlane16_swap_b32_e32 v17, v19                         // 000000004824: 7E22B313
	s_nop 1                                                    // 000000004828: BF800001
	buffer_store_dwordx4 v[16:19], v197, s[4:7], 0 offen       // 00000000482C: E07C1000 800110C5
	v_add_u32_e32 v197, s62, v197                              // 000000004834: 698B8A3E
	v_accvgpr_read_b32 v8, a48                                 // 000000004838: D3D84008 18000130
	v_accvgpr_read_b32 v9, a49                                 // 000000004840: D3D84009 18000131
	v_accvgpr_read_b32 v10, a50                                // 000000004848: D3D8400A 18000132
	v_accvgpr_read_b32 v11, a51                                // 000000004850: D3D8400B 18000133
	v_accvgpr_read_b32 v12, a56                                // 000000004858: D3D8400C 18000138
	v_accvgpr_read_b32 v13, a57                                // 000000004860: D3D8400D 18000139
	v_accvgpr_read_b32 v14, a58                                // 000000004868: D3D8400E 1800013A
	v_accvgpr_read_b32 v15, a59                                // 000000004870: D3D8400F 1800013B
	v_cvt_pk_bf16_f32 v16, v8, v9                              // 000000004878: D2680010 00021308
	v_cvt_pk_bf16_f32 v17, v10, v11                            // 000000004880: D2680011 0002170A
	v_cvt_pk_bf16_f32 v18, v12, v13                            // 000000004888: D2680012 00021B0C
	v_cvt_pk_bf16_f32 v19, v14, v15                            // 000000004890: D2680013 00021F0E
	s_nop 1                                                    // 000000004898: BF800001
	v_permlane16_swap_b32_e32 v16, v18                         // 00000000489C: 7E20B312
	s_nop 1                                                    // 0000000048A0: BF800001
	v_permlane16_swap_b32_e32 v17, v19                         // 0000000048A4: 7E22B313
	s_nop 1                                                    // 0000000048A8: BF800001
	buffer_store_dwordx4 v[16:19], v197, s[4:7], 0 offen       // 0000000048AC: E07C1000 800110C5
	v_add_u32_e32 v197, s62, v197                              // 0000000048B4: 698B8A3E
	v_accvgpr_read_b32 v8, a52                                 // 0000000048B8: D3D84008 18000134
	v_accvgpr_read_b32 v9, a53                                 // 0000000048C0: D3D84009 18000135
	v_accvgpr_read_b32 v10, a54                                // 0000000048C8: D3D8400A 18000136
	v_accvgpr_read_b32 v11, a55                                // 0000000048D0: D3D8400B 18000137
	v_accvgpr_read_b32 v12, a60                                // 0000000048D8: D3D8400C 1800013C
	v_accvgpr_read_b32 v13, a61                                // 0000000048E0: D3D8400D 1800013D
	v_accvgpr_read_b32 v14, a62                                // 0000000048E8: D3D8400E 1800013E
	v_accvgpr_read_b32 v15, a63                                // 0000000048F0: D3D8400F 1800013F
	v_cvt_pk_bf16_f32 v16, v8, v9                              // 0000000048F8: D2680010 00021308
	v_cvt_pk_bf16_f32 v17, v10, v11                            // 000000004900: D2680011 0002170A
	v_cvt_pk_bf16_f32 v18, v12, v13                            // 000000004908: D2680012 00021B0C
	v_cvt_pk_bf16_f32 v19, v14, v15                            // 000000004910: D2680013 00021F0E
	s_nop 1                                                    // 000000004918: BF800001
	v_permlane16_swap_b32_e32 v16, v18                         // 00000000491C: 7E20B312
	s_nop 1                                                    // 000000004920: BF800001
	v_permlane16_swap_b32_e32 v17, v19                         // 000000004924: 7E22B313
	s_nop 1                                                    // 000000004928: BF800001
	buffer_store_dwordx4 v[16:19], v197, s[4:7], 0 offen       // 00000000492C: E07C1000 800110C5
	v_add_u32_e32 v197, s62, v197                              // 000000004934: 698B8A3E
	v_add_u32_e32 v197, 64, v193                               // 000000004938: 698B82C0
	v_accvgpr_read_b32 v8, a16                                 // 00000000493C: D3D84008 18000110
	v_accvgpr_read_b32 v9, a17                                 // 000000004944: D3D84009 18000111
	v_accvgpr_read_b32 v10, a18                                // 00000000494C: D3D8400A 18000112
	v_accvgpr_read_b32 v11, a19                                // 000000004954: D3D8400B 18000113
	v_accvgpr_read_b32 v12, a24                                // 00000000495C: D3D8400C 18000118
	v_accvgpr_read_b32 v13, a25                                // 000000004964: D3D8400D 18000119
	v_accvgpr_read_b32 v14, a26                                // 00000000496C: D3D8400E 1800011A
	v_accvgpr_read_b32 v15, a27                                // 000000004974: D3D8400F 1800011B
	v_cvt_pk_bf16_f32 v16, v8, v9                              // 00000000497C: D2680010 00021308
	v_cvt_pk_bf16_f32 v17, v10, v11                            // 000000004984: D2680011 0002170A
	v_cvt_pk_bf16_f32 v18, v12, v13                            // 00000000498C: D2680012 00021B0C
	v_cvt_pk_bf16_f32 v19, v14, v15                            // 000000004994: D2680013 00021F0E
	s_nop 1                                                    // 00000000499C: BF800001
	v_permlane16_swap_b32_e32 v16, v18                         // 0000000049A0: 7E20B312
	s_nop 1                                                    // 0000000049A4: BF800001
	v_permlane16_swap_b32_e32 v17, v19                         // 0000000049A8: 7E22B313
	s_nop 1                                                    // 0000000049AC: BF800001
	buffer_store_dwordx4 v[16:19], v197, s[4:7], 0 offen       // 0000000049B0: E07C1000 800110C5
	v_add_u32_e32 v197, s62, v197                              // 0000000049B8: 698B8A3E
	v_accvgpr_read_b32 v8, a20                                 // 0000000049BC: D3D84008 18000114
	v_accvgpr_read_b32 v9, a21                                 // 0000000049C4: D3D84009 18000115
	v_accvgpr_read_b32 v10, a22                                // 0000000049CC: D3D8400A 18000116
	v_accvgpr_read_b32 v11, a23                                // 0000000049D4: D3D8400B 18000117
	v_accvgpr_read_b32 v12, a28                                // 0000000049DC: D3D8400C 1800011C
	v_accvgpr_read_b32 v13, a29                                // 0000000049E4: D3D8400D 1800011D
	v_accvgpr_read_b32 v14, a30                                // 0000000049EC: D3D8400E 1800011E
	v_accvgpr_read_b32 v15, a31                                // 0000000049F4: D3D8400F 1800011F
	v_cvt_pk_bf16_f32 v16, v8, v9                              // 0000000049FC: D2680010 00021308
	v_cvt_pk_bf16_f32 v17, v10, v11                            // 000000004A04: D2680011 0002170A
	v_cvt_pk_bf16_f32 v18, v12, v13                            // 000000004A0C: D2680012 00021B0C
	v_cvt_pk_bf16_f32 v19, v14, v15                            // 000000004A14: D2680013 00021F0E
	s_nop 1                                                    // 000000004A1C: BF800001
	v_permlane16_swap_b32_e32 v16, v18                         // 000000004A20: 7E20B312
	s_nop 1                                                    // 000000004A24: BF800001
	v_permlane16_swap_b32_e32 v17, v19                         // 000000004A28: 7E22B313
	s_nop 1                                                    // 000000004A2C: BF800001
	buffer_store_dwordx4 v[16:19], v197, s[4:7], 0 offen       // 000000004A30: E07C1000 800110C5
	v_add_u32_e32 v197, s62, v197                              // 000000004A38: 698B8A3E
	v_accvgpr_read_b32 v8, a64                                 // 000000004A3C: D3D84008 18000140
	v_accvgpr_read_b32 v9, a65                                 // 000000004A44: D3D84009 18000141
	v_accvgpr_read_b32 v10, a66                                // 000000004A4C: D3D8400A 18000142
	v_accvgpr_read_b32 v11, a67                                // 000000004A54: D3D8400B 18000143
	v_accvgpr_read_b32 v12, a72                                // 000000004A5C: D3D8400C 18000148
	v_accvgpr_read_b32 v13, a73                                // 000000004A64: D3D8400D 18000149
	v_accvgpr_read_b32 v14, a74                                // 000000004A6C: D3D8400E 1800014A
	v_accvgpr_read_b32 v15, a75                                // 000000004A74: D3D8400F 1800014B
	v_cvt_pk_bf16_f32 v16, v8, v9                              // 000000004A7C: D2680010 00021308
	v_cvt_pk_bf16_f32 v17, v10, v11                            // 000000004A84: D2680011 0002170A
	v_cvt_pk_bf16_f32 v18, v12, v13                            // 000000004A8C: D2680012 00021B0C
	v_cvt_pk_bf16_f32 v19, v14, v15                            // 000000004A94: D2680013 00021F0E
	s_nop 1                                                    // 000000004A9C: BF800001
	v_permlane16_swap_b32_e32 v16, v18                         // 000000004AA0: 7E20B312
	s_nop 1                                                    // 000000004AA4: BF800001
	v_permlane16_swap_b32_e32 v17, v19                         // 000000004AA8: 7E22B313
	s_nop 1                                                    // 000000004AAC: BF800001
	buffer_store_dwordx4 v[16:19], v197, s[4:7], 0 offen       // 000000004AB0: E07C1000 800110C5
	v_add_u32_e32 v197, s62, v197                              // 000000004AB8: 698B8A3E
	v_accvgpr_read_b32 v8, a68                                 // 000000004ABC: D3D84008 18000144
	v_accvgpr_read_b32 v9, a69                                 // 000000004AC4: D3D84009 18000145
	v_accvgpr_read_b32 v10, a70                                // 000000004ACC: D3D8400A 18000146
	v_accvgpr_read_b32 v11, a71                                // 000000004AD4: D3D8400B 18000147
	v_accvgpr_read_b32 v12, a76                                // 000000004ADC: D3D8400C 1800014C
	v_accvgpr_read_b32 v13, a77                                // 000000004AE4: D3D8400D 1800014D
	v_accvgpr_read_b32 v14, a78                                // 000000004AEC: D3D8400E 1800014E
	v_accvgpr_read_b32 v15, a79                                // 000000004AF4: D3D8400F 1800014F
	v_cvt_pk_bf16_f32 v16, v8, v9                              // 000000004AFC: D2680010 00021308
	v_cvt_pk_bf16_f32 v17, v10, v11                            // 000000004B04: D2680011 0002170A
	v_cvt_pk_bf16_f32 v18, v12, v13                            // 000000004B0C: D2680012 00021B0C
	v_cvt_pk_bf16_f32 v19, v14, v15                            // 000000004B14: D2680013 00021F0E
	s_nop 1                                                    // 000000004B1C: BF800001
	v_permlane16_swap_b32_e32 v16, v18                         // 000000004B20: 7E20B312
	s_nop 1                                                    // 000000004B24: BF800001
	v_permlane16_swap_b32_e32 v17, v19                         // 000000004B28: 7E22B313
	s_nop 1                                                    // 000000004B2C: BF800001
	buffer_store_dwordx4 v[16:19], v197, s[4:7], 0 offen       // 000000004B30: E07C1000 800110C5
	v_add_u32_e32 v197, s62, v197                              // 000000004B38: 698B8A3E
	v_add_u32_e32 v197, 0x80, v193                             // 000000004B3C: 698B82FF 00000080
	v_accvgpr_read_b32 v8, a32                                 // 000000004B44: D3D84008 18000120
	v_accvgpr_read_b32 v9, a33                                 // 000000004B4C: D3D84009 18000121
	v_accvgpr_read_b32 v10, a34                                // 000000004B54: D3D8400A 18000122
	v_accvgpr_read_b32 v11, a35                                // 000000004B5C: D3D8400B 18000123
	v_accvgpr_read_b32 v12, a40                                // 000000004B64: D3D8400C 18000128
	v_accvgpr_read_b32 v13, a41                                // 000000004B6C: D3D8400D 18000129
	v_accvgpr_read_b32 v14, a42                                // 000000004B74: D3D8400E 1800012A
	v_accvgpr_read_b32 v15, a43                                // 000000004B7C: D3D8400F 1800012B
	v_cvt_pk_bf16_f32 v16, v8, v9                              // 000000004B84: D2680010 00021308
	v_cvt_pk_bf16_f32 v17, v10, v11                            // 000000004B8C: D2680011 0002170A
	v_cvt_pk_bf16_f32 v18, v12, v13                            // 000000004B94: D2680012 00021B0C
	v_cvt_pk_bf16_f32 v19, v14, v15                            // 000000004B9C: D2680013 00021F0E
	s_nop 1                                                    // 000000004BA4: BF800001
	v_permlane16_swap_b32_e32 v16, v18                         // 000000004BA8: 7E20B312
	s_nop 1                                                    // 000000004BAC: BF800001
	v_permlane16_swap_b32_e32 v17, v19                         // 000000004BB0: 7E22B313
	s_nop 1                                                    // 000000004BB4: BF800001
	buffer_store_dwordx4 v[16:19], v197, s[4:7], 0 offen       // 000000004BB8: E07C1000 800110C5
	v_add_u32_e32 v197, s62, v197                              // 000000004BC0: 698B8A3E
	v_accvgpr_read_b32 v8, a36                                 // 000000004BC4: D3D84008 18000124
	v_accvgpr_read_b32 v9, a37                                 // 000000004BCC: D3D84009 18000125
	v_accvgpr_read_b32 v10, a38                                // 000000004BD4: D3D8400A 18000126
	v_accvgpr_read_b32 v11, a39                                // 000000004BDC: D3D8400B 18000127
	v_accvgpr_read_b32 v12, a44                                // 000000004BE4: D3D8400C 1800012C
	v_accvgpr_read_b32 v13, a45                                // 000000004BEC: D3D8400D 1800012D
	v_accvgpr_read_b32 v14, a46                                // 000000004BF4: D3D8400E 1800012E
	v_accvgpr_read_b32 v15, a47                                // 000000004BFC: D3D8400F 1800012F
	v_cvt_pk_bf16_f32 v16, v8, v9                              // 000000004C04: D2680010 00021308
	v_cvt_pk_bf16_f32 v17, v10, v11                            // 000000004C0C: D2680011 0002170A
	v_cvt_pk_bf16_f32 v18, v12, v13                            // 000000004C14: D2680012 00021B0C
	v_cvt_pk_bf16_f32 v19, v14, v15                            // 000000004C1C: D2680013 00021F0E
	s_nop 1                                                    // 000000004C24: BF800001
	v_permlane16_swap_b32_e32 v16, v18                         // 000000004C28: 7E20B312
	s_nop 1                                                    // 000000004C2C: BF800001
	v_permlane16_swap_b32_e32 v17, v19                         // 000000004C30: 7E22B313
	s_nop 1                                                    // 000000004C34: BF800001
	buffer_store_dwordx4 v[16:19], v197, s[4:7], 0 offen       // 000000004C38: E07C1000 800110C5
	v_add_u32_e32 v197, s62, v197                              // 000000004C40: 698B8A3E
	v_accvgpr_read_b32 v8, a80                                 // 000000004C44: D3D84008 18000150
	v_accvgpr_read_b32 v9, a81                                 // 000000004C4C: D3D84009 18000151
	v_accvgpr_read_b32 v10, a82                                // 000000004C54: D3D8400A 18000152
	v_accvgpr_read_b32 v11, a83                                // 000000004C5C: D3D8400B 18000153
	v_accvgpr_read_b32 v12, a88                                // 000000004C64: D3D8400C 18000158
	v_accvgpr_read_b32 v13, a89                                // 000000004C6C: D3D8400D 18000159
	v_accvgpr_read_b32 v14, a90                                // 000000004C74: D3D8400E 1800015A
	v_accvgpr_read_b32 v15, a91                                // 000000004C7C: D3D8400F 1800015B
	v_cvt_pk_bf16_f32 v16, v8, v9                              // 000000004C84: D2680010 00021308
	v_cvt_pk_bf16_f32 v17, v10, v11                            // 000000004C8C: D2680011 0002170A
	v_cvt_pk_bf16_f32 v18, v12, v13                            // 000000004C94: D2680012 00021B0C
	v_cvt_pk_bf16_f32 v19, v14, v15                            // 000000004C9C: D2680013 00021F0E
	s_nop 1                                                    // 000000004CA4: BF800001
	v_permlane16_swap_b32_e32 v16, v18                         // 000000004CA8: 7E20B312
	s_nop 1                                                    // 000000004CAC: BF800001
	v_permlane16_swap_b32_e32 v17, v19                         // 000000004CB0: 7E22B313
	s_nop 1                                                    // 000000004CB4: BF800001
	buffer_store_dwordx4 v[16:19], v197, s[4:7], 0 offen       // 000000004CB8: E07C1000 800110C5
	v_add_u32_e32 v197, s62, v197                              // 000000004CC0: 698B8A3E
	v_accvgpr_read_b32 v8, a84                                 // 000000004CC4: D3D84008 18000154
	v_accvgpr_read_b32 v9, a85                                 // 000000004CCC: D3D84009 18000155
	v_accvgpr_read_b32 v10, a86                                // 000000004CD4: D3D8400A 18000156
	v_accvgpr_read_b32 v11, a87                                // 000000004CDC: D3D8400B 18000157
	v_accvgpr_read_b32 v12, a92                                // 000000004CE4: D3D8400C 1800015C
	v_accvgpr_read_b32 v13, a93                                // 000000004CEC: D3D8400D 1800015D
	v_accvgpr_read_b32 v14, a94                                // 000000004CF4: D3D8400E 1800015E
	v_accvgpr_read_b32 v15, a95                                // 000000004CFC: D3D8400F 1800015F
	v_cvt_pk_bf16_f32 v16, v8, v9                              // 000000004D04: D2680010 00021308
	v_cvt_pk_bf16_f32 v17, v10, v11                            // 000000004D0C: D2680011 0002170A
	v_cvt_pk_bf16_f32 v18, v12, v13                            // 000000004D14: D2680012 00021B0C
	v_cvt_pk_bf16_f32 v19, v14, v15                            // 000000004D1C: D2680013 00021F0E
	s_nop 1                                                    // 000000004D24: BF800001
	v_permlane16_swap_b32_e32 v16, v18                         // 000000004D28: 7E20B312
	s_nop 1                                                    // 000000004D2C: BF800001
	v_permlane16_swap_b32_e32 v17, v19                         // 000000004D30: 7E22B313
	s_nop 1                                                    // 000000004D34: BF800001
	buffer_store_dwordx4 v[16:19], v197, s[4:7], 0 offen       // 000000004D38: E07C1000 800110C5
	v_add_u32_e32 v197, s62, v197                              // 000000004D40: 698B8A3E
	s_branch label_09E0                                        // 000000004D44: BF82018E

0000000000004d48 <label_0852>:
	s_mul_i32 s62, s36, 16                                     // 000000004D48: 923E9024
	s_cmp_lt_i32 s60, s44                                      // 000000004D4C: BF042C3C
	s_cbranch_scc0 label_09E0                                  // 000000004D50: BF84018B
	s_addk_i32 s60, 0x20                                       // 000000004D54: B73C0020
	v_add_u32_e32 v197, 0, v193                                // 000000004D58: 698B8280
	v_accvgpr_read_b32 v8, a0                                  // 000000004D5C: D3D84008 18000100
	v_accvgpr_read_b32 v9, a1                                  // 000000004D64: D3D84009 18000101
	v_accvgpr_read_b32 v10, a2                                 // 000000004D6C: D3D8400A 18000102
	v_accvgpr_read_b32 v11, a3                                 // 000000004D74: D3D8400B 18000103
	v_accvgpr_read_b32 v12, a8                                 // 000000004D7C: D3D8400C 18000108
	v_accvgpr_read_b32 v13, a9                                 // 000000004D84: D3D8400D 18000109
	v_accvgpr_read_b32 v14, a10                                // 000000004D8C: D3D8400E 1800010A
	v_accvgpr_read_b32 v15, a11                                // 000000004D94: D3D8400F 1800010B
	v_cvt_pk_bf16_f32 v16, v8, v9                              // 000000004D9C: D2680010 00021308
	v_cvt_pk_bf16_f32 v17, v10, v11                            // 000000004DA4: D2680011 0002170A
	v_cvt_pk_bf16_f32 v18, v12, v13                            // 000000004DAC: D2680012 00021B0C
	v_cvt_pk_bf16_f32 v19, v14, v15                            // 000000004DB4: D2680013 00021F0E
	s_nop 1                                                    // 000000004DBC: BF800001
	v_permlane16_swap_b32_e32 v16, v18                         // 000000004DC0: 7E20B312
	s_nop 1                                                    // 000000004DC4: BF800001
	v_permlane16_swap_b32_e32 v17, v19                         // 000000004DC8: 7E22B313
	s_nop 1                                                    // 000000004DCC: BF800001
	buffer_store_dwordx4 v[16:19], v197, s[4:7], 0 offen       // 000000004DD0: E07C1000 800110C5
	v_add_u32_e32 v197, s62, v197                              // 000000004DD8: 698B8A3E
	v_accvgpr_read_b32 v8, a4                                  // 000000004DDC: D3D84008 18000104
	v_accvgpr_read_b32 v9, a5                                  // 000000004DE4: D3D84009 18000105
	v_accvgpr_read_b32 v10, a6                                 // 000000004DEC: D3D8400A 18000106
	v_accvgpr_read_b32 v11, a7                                 // 000000004DF4: D3D8400B 18000107
	v_accvgpr_read_b32 v12, a12                                // 000000004DFC: D3D8400C 1800010C
	v_accvgpr_read_b32 v13, a13                                // 000000004E04: D3D8400D 1800010D
	v_accvgpr_read_b32 v14, a14                                // 000000004E0C: D3D8400E 1800010E
	v_accvgpr_read_b32 v15, a15                                // 000000004E14: D3D8400F 1800010F
	v_cvt_pk_bf16_f32 v16, v8, v9                              // 000000004E1C: D2680010 00021308
	v_cvt_pk_bf16_f32 v17, v10, v11                            // 000000004E24: D2680011 0002170A
	v_cvt_pk_bf16_f32 v18, v12, v13                            // 000000004E2C: D2680012 00021B0C
	v_cvt_pk_bf16_f32 v19, v14, v15                            // 000000004E34: D2680013 00021F0E
	s_nop 1                                                    // 000000004E3C: BF800001
	v_permlane16_swap_b32_e32 v16, v18                         // 000000004E40: 7E20B312
	s_nop 1                                                    // 000000004E44: BF800001
	v_permlane16_swap_b32_e32 v17, v19                         // 000000004E48: 7E22B313
	s_nop 1                                                    // 000000004E4C: BF800001
	buffer_store_dwordx4 v[16:19], v197, s[4:7], 0 offen       // 000000004E50: E07C1000 800110C5
	v_add_u32_e32 v197, s62, v197                              // 000000004E58: 698B8A3E
	v_accvgpr_read_b32 v8, a48                                 // 000000004E5C: D3D84008 18000130
	v_accvgpr_read_b32 v9, a49                                 // 000000004E64: D3D84009 18000131
	v_accvgpr_read_b32 v10, a50                                // 000000004E6C: D3D8400A 18000132
	v_accvgpr_read_b32 v11, a51                                // 000000004E74: D3D8400B 18000133
	v_accvgpr_read_b32 v12, a56                                // 000000004E7C: D3D8400C 18000138
	v_accvgpr_read_b32 v13, a57                                // 000000004E84: D3D8400D 18000139
	v_accvgpr_read_b32 v14, a58                                // 000000004E8C: D3D8400E 1800013A
	v_accvgpr_read_b32 v15, a59                                // 000000004E94: D3D8400F 1800013B
	v_cvt_pk_bf16_f32 v16, v8, v9                              // 000000004E9C: D2680010 00021308
	v_cvt_pk_bf16_f32 v17, v10, v11                            // 000000004EA4: D2680011 0002170A
	v_cvt_pk_bf16_f32 v18, v12, v13                            // 000000004EAC: D2680012 00021B0C
	v_cvt_pk_bf16_f32 v19, v14, v15                            // 000000004EB4: D2680013 00021F0E
	s_nop 1                                                    // 000000004EBC: BF800001
	v_permlane16_swap_b32_e32 v16, v18                         // 000000004EC0: 7E20B312
	s_nop 1                                                    // 000000004EC4: BF800001
	v_permlane16_swap_b32_e32 v17, v19                         // 000000004EC8: 7E22B313
	s_nop 1                                                    // 000000004ECC: BF800001
	buffer_store_dwordx4 v[16:19], v197, s[4:7], 0 offen       // 000000004ED0: E07C1000 800110C5
	v_add_u32_e32 v197, s62, v197                              // 000000004ED8: 698B8A3E
	v_accvgpr_read_b32 v8, a52                                 // 000000004EDC: D3D84008 18000134
	v_accvgpr_read_b32 v9, a53                                 // 000000004EE4: D3D84009 18000135
	v_accvgpr_read_b32 v10, a54                                // 000000004EEC: D3D8400A 18000136
	v_accvgpr_read_b32 v11, a55                                // 000000004EF4: D3D8400B 18000137
	v_accvgpr_read_b32 v12, a60                                // 000000004EFC: D3D8400C 1800013C
	v_accvgpr_read_b32 v13, a61                                // 000000004F04: D3D8400D 1800013D
	v_accvgpr_read_b32 v14, a62                                // 000000004F0C: D3D8400E 1800013E
	v_accvgpr_read_b32 v15, a63                                // 000000004F14: D3D8400F 1800013F
	v_cvt_pk_bf16_f32 v16, v8, v9                              // 000000004F1C: D2680010 00021308
	v_cvt_pk_bf16_f32 v17, v10, v11                            // 000000004F24: D2680011 0002170A
	v_cvt_pk_bf16_f32 v18, v12, v13                            // 000000004F2C: D2680012 00021B0C
	v_cvt_pk_bf16_f32 v19, v14, v15                            // 000000004F34: D2680013 00021F0E
	s_nop 1                                                    // 000000004F3C: BF800001
	v_permlane16_swap_b32_e32 v16, v18                         // 000000004F40: 7E20B312
	s_nop 1                                                    // 000000004F44: BF800001
	v_permlane16_swap_b32_e32 v17, v19                         // 000000004F48: 7E22B313
	s_nop 1                                                    // 000000004F4C: BF800001
	buffer_store_dwordx4 v[16:19], v197, s[4:7], 0 offen       // 000000004F50: E07C1000 800110C5
	v_add_u32_e32 v197, s62, v197                              // 000000004F58: 698B8A3E
	s_cmp_lt_i32 s60, s44                                      // 000000004F5C: BF042C3C
	s_cbranch_scc0 label_09E0                                  // 000000004F60: BF840107
	s_addk_i32 s60, 0x20                                       // 000000004F64: B73C0020
	v_add_u32_e32 v197, 64, v193                               // 000000004F68: 698B82C0
	v_accvgpr_read_b32 v8, a16                                 // 000000004F6C: D3D84008 18000110
	v_accvgpr_read_b32 v9, a17                                 // 000000004F74: D3D84009 18000111
	v_accvgpr_read_b32 v10, a18                                // 000000004F7C: D3D8400A 18000112
	v_accvgpr_read_b32 v11, a19                                // 000000004F84: D3D8400B 18000113
	v_accvgpr_read_b32 v12, a24                                // 000000004F8C: D3D8400C 18000118
	v_accvgpr_read_b32 v13, a25                                // 000000004F94: D3D8400D 18000119
	v_accvgpr_read_b32 v14, a26                                // 000000004F9C: D3D8400E 1800011A
	v_accvgpr_read_b32 v15, a27                                // 000000004FA4: D3D8400F 1800011B
	v_cvt_pk_bf16_f32 v16, v8, v9                              // 000000004FAC: D2680010 00021308
	v_cvt_pk_bf16_f32 v17, v10, v11                            // 000000004FB4: D2680011 0002170A
	v_cvt_pk_bf16_f32 v18, v12, v13                            // 000000004FBC: D2680012 00021B0C
	v_cvt_pk_bf16_f32 v19, v14, v15                            // 000000004FC4: D2680013 00021F0E
	s_nop 1                                                    // 000000004FCC: BF800001
	v_permlane16_swap_b32_e32 v16, v18                         // 000000004FD0: 7E20B312
	s_nop 1                                                    // 000000004FD4: BF800001
	v_permlane16_swap_b32_e32 v17, v19                         // 000000004FD8: 7E22B313
	s_nop 1                                                    // 000000004FDC: BF800001
	buffer_store_dwordx4 v[16:19], v197, s[4:7], 0 offen       // 000000004FE0: E07C1000 800110C5
	v_add_u32_e32 v197, s62, v197                              // 000000004FE8: 698B8A3E
	v_accvgpr_read_b32 v8, a20                                 // 000000004FEC: D3D84008 18000114
	v_accvgpr_read_b32 v9, a21                                 // 000000004FF4: D3D84009 18000115
	v_accvgpr_read_b32 v10, a22                                // 000000004FFC: D3D8400A 18000116
	v_accvgpr_read_b32 v11, a23                                // 000000005004: D3D8400B 18000117
	v_accvgpr_read_b32 v12, a28                                // 00000000500C: D3D8400C 1800011C
	v_accvgpr_read_b32 v13, a29                                // 000000005014: D3D8400D 1800011D
	v_accvgpr_read_b32 v14, a30                                // 00000000501C: D3D8400E 1800011E
	v_accvgpr_read_b32 v15, a31                                // 000000005024: D3D8400F 1800011F
	v_cvt_pk_bf16_f32 v16, v8, v9                              // 00000000502C: D2680010 00021308
	v_cvt_pk_bf16_f32 v17, v10, v11                            // 000000005034: D2680011 0002170A
	v_cvt_pk_bf16_f32 v18, v12, v13                            // 00000000503C: D2680012 00021B0C
	v_cvt_pk_bf16_f32 v19, v14, v15                            // 000000005044: D2680013 00021F0E
	s_nop 1                                                    // 00000000504C: BF800001
	v_permlane16_swap_b32_e32 v16, v18                         // 000000005050: 7E20B312
	s_nop 1                                                    // 000000005054: BF800001
	v_permlane16_swap_b32_e32 v17, v19                         // 000000005058: 7E22B313
	s_nop 1                                                    // 00000000505C: BF800001
	buffer_store_dwordx4 v[16:19], v197, s[4:7], 0 offen       // 000000005060: E07C1000 800110C5
	v_add_u32_e32 v197, s62, v197                              // 000000005068: 698B8A3E
	v_accvgpr_read_b32 v8, a64                                 // 00000000506C: D3D84008 18000140
	v_accvgpr_read_b32 v9, a65                                 // 000000005074: D3D84009 18000141
	v_accvgpr_read_b32 v10, a66                                // 00000000507C: D3D8400A 18000142
	v_accvgpr_read_b32 v11, a67                                // 000000005084: D3D8400B 18000143
	v_accvgpr_read_b32 v12, a72                                // 00000000508C: D3D8400C 18000148
	v_accvgpr_read_b32 v13, a73                                // 000000005094: D3D8400D 18000149
	v_accvgpr_read_b32 v14, a74                                // 00000000509C: D3D8400E 1800014A
	v_accvgpr_read_b32 v15, a75                                // 0000000050A4: D3D8400F 1800014B
	v_cvt_pk_bf16_f32 v16, v8, v9                              // 0000000050AC: D2680010 00021308
	v_cvt_pk_bf16_f32 v17, v10, v11                            // 0000000050B4: D2680011 0002170A
	v_cvt_pk_bf16_f32 v18, v12, v13                            // 0000000050BC: D2680012 00021B0C
	v_cvt_pk_bf16_f32 v19, v14, v15                            // 0000000050C4: D2680013 00021F0E
	s_nop 1                                                    // 0000000050CC: BF800001
	v_permlane16_swap_b32_e32 v16, v18                         // 0000000050D0: 7E20B312
	s_nop 1                                                    // 0000000050D4: BF800001
	v_permlane16_swap_b32_e32 v17, v19                         // 0000000050D8: 7E22B313
	s_nop 1                                                    // 0000000050DC: BF800001
	buffer_store_dwordx4 v[16:19], v197, s[4:7], 0 offen       // 0000000050E0: E07C1000 800110C5
	v_add_u32_e32 v197, s62, v197                              // 0000000050E8: 698B8A3E
	v_accvgpr_read_b32 v8, a68                                 // 0000000050EC: D3D84008 18000144
	v_accvgpr_read_b32 v9, a69                                 // 0000000050F4: D3D84009 18000145
	v_accvgpr_read_b32 v10, a70                                // 0000000050FC: D3D8400A 18000146
	v_accvgpr_read_b32 v11, a71                                // 000000005104: D3D8400B 18000147
	v_accvgpr_read_b32 v12, a76                                // 00000000510C: D3D8400C 1800014C
	v_accvgpr_read_b32 v13, a77                                // 000000005114: D3D8400D 1800014D
	v_accvgpr_read_b32 v14, a78                                // 00000000511C: D3D8400E 1800014E
	v_accvgpr_read_b32 v15, a79                                // 000000005124: D3D8400F 1800014F
	v_cvt_pk_bf16_f32 v16, v8, v9                              // 00000000512C: D2680010 00021308
	v_cvt_pk_bf16_f32 v17, v10, v11                            // 000000005134: D2680011 0002170A
	v_cvt_pk_bf16_f32 v18, v12, v13                            // 00000000513C: D2680012 00021B0C
	v_cvt_pk_bf16_f32 v19, v14, v15                            // 000000005144: D2680013 00021F0E
	s_nop 1                                                    // 00000000514C: BF800001
	v_permlane16_swap_b32_e32 v16, v18                         // 000000005150: 7E20B312
	s_nop 1                                                    // 000000005154: BF800001
	v_permlane16_swap_b32_e32 v17, v19                         // 000000005158: 7E22B313
	s_nop 1                                                    // 00000000515C: BF800001
	buffer_store_dwordx4 v[16:19], v197, s[4:7], 0 offen       // 000000005160: E07C1000 800110C5
	v_add_u32_e32 v197, s62, v197                              // 000000005168: 698B8A3E
	s_cmp_lt_i32 s60, s44                                      // 00000000516C: BF042C3C
	s_cbranch_scc0 label_09E0                                  // 000000005170: BF840083
	s_addk_i32 s60, 0x20                                       // 000000005174: B73C0020
	v_add_u32_e32 v197, 0x80, v193                             // 000000005178: 698B82FF 00000080
	v_accvgpr_read_b32 v8, a32                                 // 000000005180: D3D84008 18000120
	v_accvgpr_read_b32 v9, a33                                 // 000000005188: D3D84009 18000121
	v_accvgpr_read_b32 v10, a34                                // 000000005190: D3D8400A 18000122
	v_accvgpr_read_b32 v11, a35                                // 000000005198: D3D8400B 18000123
	v_accvgpr_read_b32 v12, a40                                // 0000000051A0: D3D8400C 18000128
	v_accvgpr_read_b32 v13, a41                                // 0000000051A8: D3D8400D 18000129
	v_accvgpr_read_b32 v14, a42                                // 0000000051B0: D3D8400E 1800012A
	v_accvgpr_read_b32 v15, a43                                // 0000000051B8: D3D8400F 1800012B
	v_cvt_pk_bf16_f32 v16, v8, v9                              // 0000000051C0: D2680010 00021308
	v_cvt_pk_bf16_f32 v17, v10, v11                            // 0000000051C8: D2680011 0002170A
	v_cvt_pk_bf16_f32 v18, v12, v13                            // 0000000051D0: D2680012 00021B0C
	v_cvt_pk_bf16_f32 v19, v14, v15                            // 0000000051D8: D2680013 00021F0E
	s_nop 1                                                    // 0000000051E0: BF800001
	v_permlane16_swap_b32_e32 v16, v18                         // 0000000051E4: 7E20B312
	s_nop 1                                                    // 0000000051E8: BF800001
	v_permlane16_swap_b32_e32 v17, v19                         // 0000000051EC: 7E22B313
	s_nop 1                                                    // 0000000051F0: BF800001
	buffer_store_dwordx4 v[16:19], v197, s[4:7], 0 offen       // 0000000051F4: E07C1000 800110C5
	v_add_u32_e32 v197, s62, v197                              // 0000000051FC: 698B8A3E
	v_accvgpr_read_b32 v8, a36                                 // 000000005200: D3D84008 18000124
	v_accvgpr_read_b32 v9, a37                                 // 000000005208: D3D84009 18000125
	v_accvgpr_read_b32 v10, a38                                // 000000005210: D3D8400A 18000126
	v_accvgpr_read_b32 v11, a39                                // 000000005218: D3D8400B 18000127
	v_accvgpr_read_b32 v12, a44                                // 000000005220: D3D8400C 1800012C
	v_accvgpr_read_b32 v13, a45                                // 000000005228: D3D8400D 1800012D
	v_accvgpr_read_b32 v14, a46                                // 000000005230: D3D8400E 1800012E
	v_accvgpr_read_b32 v15, a47                                // 000000005238: D3D8400F 1800012F
	v_cvt_pk_bf16_f32 v16, v8, v9                              // 000000005240: D2680010 00021308
	v_cvt_pk_bf16_f32 v17, v10, v11                            // 000000005248: D2680011 0002170A
	v_cvt_pk_bf16_f32 v18, v12, v13                            // 000000005250: D2680012 00021B0C
	v_cvt_pk_bf16_f32 v19, v14, v15                            // 000000005258: D2680013 00021F0E
	s_nop 1                                                    // 000000005260: BF800001
	v_permlane16_swap_b32_e32 v16, v18                         // 000000005264: 7E20B312
	s_nop 1                                                    // 000000005268: BF800001
	v_permlane16_swap_b32_e32 v17, v19                         // 00000000526C: 7E22B313
	s_nop 1                                                    // 000000005270: BF800001
	buffer_store_dwordx4 v[16:19], v197, s[4:7], 0 offen       // 000000005274: E07C1000 800110C5
	v_add_u32_e32 v197, s62, v197                              // 00000000527C: 698B8A3E
	v_accvgpr_read_b32 v8, a80                                 // 000000005280: D3D84008 18000150
	v_accvgpr_read_b32 v9, a81                                 // 000000005288: D3D84009 18000151
	v_accvgpr_read_b32 v10, a82                                // 000000005290: D3D8400A 18000152
	v_accvgpr_read_b32 v11, a83                                // 000000005298: D3D8400B 18000153
	v_accvgpr_read_b32 v12, a88                                // 0000000052A0: D3D8400C 18000158
	v_accvgpr_read_b32 v13, a89                                // 0000000052A8: D3D8400D 18000159
	v_accvgpr_read_b32 v14, a90                                // 0000000052B0: D3D8400E 1800015A
	v_accvgpr_read_b32 v15, a91                                // 0000000052B8: D3D8400F 1800015B
	v_cvt_pk_bf16_f32 v16, v8, v9                              // 0000000052C0: D2680010 00021308
	v_cvt_pk_bf16_f32 v17, v10, v11                            // 0000000052C8: D2680011 0002170A
	v_cvt_pk_bf16_f32 v18, v12, v13                            // 0000000052D0: D2680012 00021B0C
	v_cvt_pk_bf16_f32 v19, v14, v15                            // 0000000052D8: D2680013 00021F0E
	s_nop 1                                                    // 0000000052E0: BF800001
	v_permlane16_swap_b32_e32 v16, v18                         // 0000000052E4: 7E20B312
	s_nop 1                                                    // 0000000052E8: BF800001
	v_permlane16_swap_b32_e32 v17, v19                         // 0000000052EC: 7E22B313
	s_nop 1                                                    // 0000000052F0: BF800001
	buffer_store_dwordx4 v[16:19], v197, s[4:7], 0 offen       // 0000000052F4: E07C1000 800110C5
	v_add_u32_e32 v197, s62, v197                              // 0000000052FC: 698B8A3E
	v_accvgpr_read_b32 v8, a84                                 // 000000005300: D3D84008 18000154
	v_accvgpr_read_b32 v9, a85                                 // 000000005308: D3D84009 18000155
	v_accvgpr_read_b32 v10, a86                                // 000000005310: D3D8400A 18000156
	v_accvgpr_read_b32 v11, a87                                // 000000005318: D3D8400B 18000157
	v_accvgpr_read_b32 v12, a92                                // 000000005320: D3D8400C 1800015C
	v_accvgpr_read_b32 v13, a93                                // 000000005328: D3D8400D 1800015D
	v_accvgpr_read_b32 v14, a94                                // 000000005330: D3D8400E 1800015E
	v_accvgpr_read_b32 v15, a95                                // 000000005338: D3D8400F 1800015F
	v_cvt_pk_bf16_f32 v16, v8, v9                              // 000000005340: D2680010 00021308
	v_cvt_pk_bf16_f32 v17, v10, v11                            // 000000005348: D2680011 0002170A
	v_cvt_pk_bf16_f32 v18, v12, v13                            // 000000005350: D2680012 00021B0C
	v_cvt_pk_bf16_f32 v19, v14, v15                            // 000000005358: D2680013 00021F0E
	s_nop 1                                                    // 000000005360: BF800001
	v_permlane16_swap_b32_e32 v16, v18                         // 000000005364: 7E20B312
	s_nop 1                                                    // 000000005368: BF800001
	v_permlane16_swap_b32_e32 v17, v19                         // 00000000536C: 7E22B313
	s_nop 1                                                    // 000000005370: BF800001
	buffer_store_dwordx4 v[16:19], v197, s[4:7], 0 offen       // 000000005374: E07C1000 800110C5
	v_add_u32_e32 v197, s62, v197                              // 00000000537C: 698B8A3E

0000000000005380 <label_09E0>:
	s_waitcnt vmcnt(0) expcnt(0) lgkmcnt(0)                    // 000000005380: BF8C0000
	s_endpgm                                                   // 000000005384: BF810000
